;; amdgpu-corpus repo=ROCm/rocFFT kind=compiled arch=gfx1100 opt=O3
	.text
	.amdgcn_target "amdgcn-amd-amdhsa--gfx1100"
	.amdhsa_code_object_version 6
	.protected	bluestein_single_back_len3456_dim1_sp_op_CI_CI ; -- Begin function bluestein_single_back_len3456_dim1_sp_op_CI_CI
	.globl	bluestein_single_back_len3456_dim1_sp_op_CI_CI
	.p2align	8
	.type	bluestein_single_back_len3456_dim1_sp_op_CI_CI,@function
bluestein_single_back_len3456_dim1_sp_op_CI_CI: ; @bluestein_single_back_len3456_dim1_sp_op_CI_CI
; %bb.0:
	s_load_b128 s[16:19], s[0:1], 0x28
	v_mul_u32_u24_e32 v1, 0x1c8, v0
	s_mov_b32 s2, exec_lo
	v_mov_b32_e32 v4, 0
	s_delay_alu instid0(VALU_DEP_2) | instskip(NEXT) | instid1(VALU_DEP_1)
	v_lshrrev_b32_e32 v1, 16, v1
	v_add_nc_u32_e32 v3, s15, v1
	s_waitcnt lgkmcnt(0)
	s_delay_alu instid0(VALU_DEP_1)
	v_cmpx_gt_u64_e64 s[16:17], v[3:4]
	s_cbranch_execz .LBB0_2
; %bb.1:
	v_mul_lo_u16 v1, 0x90, v1
	s_clause 0x2
	s_load_b128 s[4:7], s[0:1], 0x18
	s_load_b128 s[8:11], s[0:1], 0x0
	s_load_b64 s[0:1], s[0:1], 0x38
	v_sub_nc_u16 v90, v0, v1
	s_delay_alu instid0(VALU_DEP_1) | instskip(NEXT) | instid1(VALU_DEP_1)
	v_and_b32_e32 v4, 0xffff, v90
	v_mov_b32_e32 v6, v4
	s_waitcnt lgkmcnt(0)
	s_load_b128 s[12:15], s[4:5], 0x0
	s_delay_alu instid0(VALU_DEP_1) | instskip(SKIP_2) | instid1(VALU_DEP_2)
	v_dual_mov_b32 v9, v6 :: v_dual_mov_b32 v10, v3
	v_or_b32_e32 v8, 0x900, v4
	s_add_u32 s2, s8, 0x6c00
	v_lshlrev_b32_e32 v203, 3, v9
	scratch_store_b64 off, v[10:11], off offset:20 ; 8-byte Folded Spill
	v_dual_mov_b32 v83, v9 :: v_dual_lshlrev_b32 v238, 3, v8
	global_load_b64 v[26:27], v203, s[8:9]
	v_add_co_u32 v16, s3, s8, v203
	global_load_b64 v[22:23], v238, s[8:9]
	v_add_co_ci_u32_e64 v17, null, s9, 0, s3
	s_addc_u32 s3, s9, 0
	v_add_nc_u32_e32 v220, 0x2400, v203
	v_add_nc_u32_e32 v236, 0x2c00, v203
	s_waitcnt lgkmcnt(0)
	v_mad_u64_u32 v[0:1], null, s14, v3, 0
	v_mad_u64_u32 v[2:3], null, s12, v4, 0
	;; [unrolled: 1-line block ×3, first 2 shown]
	s_mul_i32 s5, s13, 0x1200
	s_mul_hi_u32 s14, s12, 0x1200
	s_mul_i32 s4, s12, 0x1200
	s_add_i32 s5, s14, s5
	s_delay_alu instid0(VALU_DEP_2) | instskip(NEXT) | instid1(VALU_DEP_2)
	v_mad_u64_u32 v[6:7], null, s15, v10, v[1:2]
	v_dual_mov_b32 v10, v8 :: v_dual_mov_b32 v1, v5
	s_delay_alu instid0(VALU_DEP_3) | instskip(SKIP_2) | instid1(VALU_DEP_4)
	v_mad_u64_u32 v[7:8], null, s13, v9, v[3:4]
	v_add_nc_u32_e32 v218, 0x1800, v203
	v_add_nc_u32_e32 v156, 0x6000, v203
	v_mad_u64_u32 v[8:9], null, s13, v10, v[1:2]
	v_mov_b32_e32 v1, v6
	scratch_store_b32 off, v10, off         ; 4-byte Folded Spill
	v_mov_b32_e32 v3, v7
	v_add_co_u32 v91, null, 0x90, v83
	v_lshlrev_b64 v[0:1], 3, v[0:1]
	v_mov_b32_e32 v5, v8
	v_mad_u64_u32 v[88:89], null, v83, 24, s[10:11]
	v_add_nc_u32_e32 v255, 0x800, v203
	v_add_nc_u32_e32 v159, 0x4800, v203
	v_add_co_u32 v6, vcc_lo, s18, v0
	v_add_co_ci_u32_e32 v7, vcc_lo, s19, v1, vcc_lo
	v_lshlrev_b64 v[0:1], 3, v[4:5]
	v_add_nc_u32_e32 v235, 0x3400, v203
	v_add_nc_u32_e32 v237, 0x5000, v203
	;; [unrolled: 1-line block ×3, first 2 shown]
	s_waitcnt vmcnt(1)
	v_dual_mov_b32 v33, v27 :: v_dual_mov_b32 v32, v26
	v_lshlrev_b64 v[2:3], 3, v[2:3]
	s_delay_alu instid0(VALU_DEP_1) | instskip(NEXT) | instid1(VALU_DEP_2)
	v_add_co_u32 v2, vcc_lo, v6, v2
	v_add_co_ci_u32_e32 v3, vcc_lo, v7, v3, vcc_lo
	v_add_co_u32 v0, vcc_lo, v6, v0
	v_add_co_ci_u32_e32 v1, vcc_lo, v7, v1, vcc_lo
	global_load_b64 v[6:7], v[2:3], off
	v_add_co_u32 v4, vcc_lo, 0x1000, v16
	global_load_b64 v[12:13], v[0:1], off
	v_add_co_ci_u32_e32 v5, vcc_lo, 0, v17, vcc_lo
	v_add_co_u32 v0, vcc_lo, v2, s4
	v_add_co_ci_u32_e32 v1, vcc_lo, s5, v3, vcc_lo
	global_load_b64 v[24:25], v[4:5], off offset:512
	global_load_b64 v[10:11], v[0:1], off
	v_add_co_u32 v8, vcc_lo, v0, s4
	v_add_co_ci_u32_e32 v9, vcc_lo, s5, v1, vcc_lo
	s_clause 0x2
	global_load_b64 v[227:228], v203, s[8:9] offset:1152
	global_load_b64 v[229:230], v203, s[8:9] offset:2304
	;; [unrolled: 1-line block ×3, first 2 shown]
	v_add_co_u32 v2, vcc_lo, v8, s4
	v_add_co_ci_u32_e32 v3, vcc_lo, s5, v9, vcc_lo
	v_add_co_u32 v18, vcc_lo, 0x5000, v16
	v_add_co_ci_u32_e32 v19, vcc_lo, 0, v17, vcc_lo
	s_delay_alu instid0(VALU_DEP_3)
	v_mad_u64_u32 v[0:1], null, 0x2400, s12, v[2:3]
	s_waitcnt vmcnt(7)
	scratch_store_b64 off, v[22:23], off offset:36 ; 8-byte Folded Spill
	global_load_b64 v[30:31], v[18:19], off offset:1408
	s_mul_hi_u32 s8, s12, 0xffffaa80
	s_mul_i32 s9, s13, 0xffffaa80
	s_sub_i32 s8, s8, s12
	s_mulk_i32 s12, 0xaa80
	v_mad_u64_u32 v[14:15], null, 0x2400, s13, v[1:2]
	s_add_i32 s8, s8, s9
	s_waitcnt vmcnt(7)
	s_delay_alu instid0(VALU_DEP_1)
	v_dual_mov_b32 v1, v14 :: v_dual_mul_f32 v20, v7, v27
	v_mul_f32_e32 v15, v6, v27
	global_load_b64 v[26:27], v[18:19], off offset:256
	v_fmac_f32_e32 v20, v6, v32
	s_waitcnt vmcnt(7)
	v_mul_f32_e32 v6, v13, v23
	scratch_store_b64 off, v[32:33], off offset:60 ; 8-byte Folded Spill
	v_fmac_f32_e32 v6, v12, v22
	v_fma_f32 v21, v7, v32, -v15
	s_clause 0x2
	global_load_b64 v[208:209], v[4:5], off offset:1664
	global_load_b64 v[239:240], v[4:5], off offset:2816
	global_load_b64 v[32:33], v[4:5], off offset:3968
	s_waitcnt vmcnt(8)
	v_mul_f32_e32 v4, v10, v25
	scratch_store_b64 off, v[24:25], off offset:44 ; 8-byte Folded Spill
	v_mul_f32_e32 v7, v12, v23
	v_fma_f32 v5, v11, v24, -v4
	v_mul_f32_e32 v4, v11, v25
	s_delay_alu instid0(VALU_DEP_3) | instskip(NEXT) | instid1(VALU_DEP_2)
	v_fma_f32 v7, v13, v22, -v7
	v_fmac_f32_e32 v4, v10, v24
	v_add_co_u32 v10, vcc_lo, 0x2000, v16
	v_add_co_ci_u32_e32 v11, vcc_lo, 0, v17, vcc_lo
	global_load_b64 v[8:9], v[8:9], off
	s_clause 0x2
	global_load_b64 v[206:207], v[10:11], off offset:1024
	global_load_b64 v[212:213], v[10:11], off offset:2176
	;; [unrolled: 1-line block ×3, first 2 shown]
	v_add_co_u32 v11, vcc_lo, 0x3000, v16
	v_add_co_ci_u32_e32 v12, vcc_lo, 0, v17, vcc_lo
	global_load_b64 v[2:3], v[2:3], off
	s_clause 0x3
	global_load_b64 v[210:211], v[11:12], off offset:1536
	global_load_b64 v[223:224], v[11:12], off offset:2688
	global_load_b64 v[34:35], v[11:12], off offset:3840
	global_load_b64 v[253:254], v[11:12], off offset:384
	s_waitcnt vmcnt(3)
	v_mul_f32_e32 v11, v3, v211
	s_delay_alu instid0(VALU_DEP_1) | instskip(NEXT) | instid1(VALU_DEP_1)
	v_dual_mul_f32 v10, v8, v207 :: v_dual_fmac_f32 v11, v2, v210
	v_fma_f32 v10, v9, v206, -v10
	v_mul_f32_e32 v9, v9, v207
	s_delay_alu instid0(VALU_DEP_1) | instskip(SKIP_1) | instid1(VALU_DEP_2)
	v_dual_fmac_f32 v9, v8, v206 :: v_dual_mul_f32 v8, v2, v211
	v_add_co_u32 v2, vcc_lo, v0, s12
	v_fma_f32 v12, v3, v210, -v8
	v_add_co_ci_u32_e32 v3, vcc_lo, s8, v1, vcc_lo
	global_load_b64 v[0:1], v[0:1], off
	global_load_b64 v[225:226], v[18:19], off offset:2560
	s_waitcnt vmcnt(0)
	v_mul_f32_e32 v13, v1, v226
	v_mul_f32_e32 v8, v0, v226
	s_delay_alu instid0(VALU_DEP_2) | instskip(NEXT) | instid1(VALU_DEP_2)
	v_fmac_f32_e32 v13, v0, v225
	v_fma_f32 v14, v1, v225, -v8
	global_load_b64 v[0:1], v[2:3], off
	s_waitcnt vmcnt(0)
	v_mul_f32_e32 v22, v1, v228
	v_mul_f32_e32 v8, v0, v228
	s_delay_alu instid0(VALU_DEP_2) | instskip(SKIP_1) | instid1(VALU_DEP_3)
	v_fmac_f32_e32 v22, v0, v227
	v_add_co_u32 v0, vcc_lo, v2, s4
	v_fma_f32 v23, v1, v227, -v8
	v_add_co_ci_u32_e32 v1, vcc_lo, s5, v3, vcc_lo
	s_delay_alu instid0(VALU_DEP_3)
	v_add_co_u32 v2, vcc_lo, v0, s4
	ds_store_b64 v203, v[4:5] offset:4608
	ds_store_b64 v203, v[9:10] offset:9216
	;; [unrolled: 1-line block ×5, first 2 shown]
	ds_store_2addr_b64 v203, v[20:21], v[22:23] offset1:144
	v_add_co_ci_u32_e32 v3, vcc_lo, s5, v1, vcc_lo
	global_load_b64 v[0:1], v[0:1], off
	s_clause 0x1
	scratch_store_b64 off, v[24:25], off offset:68
	scratch_store_b64 off, v[34:35], off offset:152
	s_waitcnt vmcnt(0)
	v_mul_f32_e32 v4, v0, v209
	s_delay_alu instid0(VALU_DEP_1) | instskip(SKIP_1) | instid1(VALU_DEP_1)
	v_fma_f32 v5, v1, v208, -v4
	v_mul_f32_e32 v4, v1, v209
	v_fmac_f32_e32 v4, v0, v208
	v_add_co_u32 v0, vcc_lo, v2, s4
	v_add_co_ci_u32_e32 v1, vcc_lo, s5, v3, vcc_lo
	global_load_b64 v[2:3], v[2:3], off
	v_add_co_u32 v6, vcc_lo, v0, s4
	v_add_co_ci_u32_e32 v7, vcc_lo, s5, v1, vcc_lo
	global_load_b64 v[0:1], v[0:1], off
	v_add_co_u32 v8, vcc_lo, v6, s4
	v_add_co_ci_u32_e32 v9, vcc_lo, s5, v7, vcc_lo
	s_delay_alu instid0(VALU_DEP_2) | instskip(NEXT) | instid1(VALU_DEP_2)
	v_add_co_u32 v10, vcc_lo, v8, s12
	v_add_co_ci_u32_e32 v11, vcc_lo, s8, v9, vcc_lo
	s_delay_alu instid0(VALU_DEP_2) | instskip(NEXT) | instid1(VALU_DEP_2)
	v_add_co_u32 v12, vcc_lo, v10, s4
	v_add_co_ci_u32_e32 v13, vcc_lo, s5, v11, vcc_lo
	global_load_b64 v[14:15], v[12:13], off
	s_waitcnt vmcnt(0)
	v_mul_f32_e32 v20, v14, v240
	s_delay_alu instid0(VALU_DEP_1) | instskip(SKIP_1) | instid1(VALU_DEP_1)
	v_fma_f32 v21, v15, v239, -v20
	v_mul_f32_e32 v20, v15, v240
	v_fmac_f32_e32 v20, v14, v239
	v_add_nc_u32_e32 v14, 0x1400, v203
	ds_store_2addr_b64 v14, v[4:5], v[20:21] offset0:80 offset1:224
	v_add_co_u32 v4, vcc_lo, v12, s4
	v_mul_f32_e32 v12, v2, v213
	v_add_co_ci_u32_e32 v5, vcc_lo, s5, v13, vcc_lo
	s_delay_alu instid0(VALU_DEP_2) | instskip(SKIP_1) | instid1(VALU_DEP_1)
	v_fma_f32 v13, v3, v212, -v12
	v_mul_f32_e32 v12, v3, v213
	v_fmac_f32_e32 v12, v2, v212
	global_load_b64 v[2:3], v[4:5], off
	s_waitcnt vmcnt(0)
	v_mul_f32_e32 v14, v2, v25
	s_delay_alu instid0(VALU_DEP_1) | instskip(SKIP_1) | instid1(VALU_DEP_1)
	v_fma_f32 v15, v3, v24, -v14
	v_mul_f32_e32 v14, v3, v25
	v_fmac_f32_e32 v14, v2, v24
	v_add_nc_u32_e32 v2, 0x2800, v203
	ds_store_2addr_b64 v2, v[12:13], v[14:15] offset0:16 offset1:160
	v_add_co_u32 v2, vcc_lo, v4, s4
	v_mul_f32_e32 v4, v0, v224
	v_add_co_ci_u32_e32 v3, vcc_lo, s5, v5, vcc_lo
	s_delay_alu instid0(VALU_DEP_2) | instskip(SKIP_1) | instid1(VALU_DEP_1)
	v_fma_f32 v5, v1, v223, -v4
	v_mul_f32_e32 v4, v1, v224
	v_fmac_f32_e32 v4, v0, v223
	global_load_b64 v[0:1], v[2:3], off
	s_waitcnt vmcnt(0)
	v_mul_f32_e32 v12, v0, v35
	s_delay_alu instid0(VALU_DEP_1) | instskip(SKIP_1) | instid1(VALU_DEP_1)
	v_fma_f32 v13, v1, v34, -v12
	v_mul_f32_e32 v12, v1, v35
	v_fmac_f32_e32 v12, v0, v34
	v_add_nc_u32_e32 v0, 0x3800, v203
	ds_store_2addr_b64 v0, v[4:5], v[12:13] offset0:80 offset1:224
	v_add_co_u32 v0, vcc_lo, v2, s4
	v_add_co_ci_u32_e32 v1, vcc_lo, s5, v3, vcc_lo
	v_add_co_u32 v2, vcc_lo, 0x4000, v16
	v_add_co_ci_u32_e32 v3, vcc_lo, 0, v17, vcc_lo
	global_load_b64 v[4:5], v[6:7], off
	s_clause 0x1
	global_load_b64 v[221:222], v[2:3], off offset:3200
	global_load_b64 v[241:242], v[2:3], off offset:896
	scratch_store_b64 off, v[26:27], off offset:4 ; 8-byte Folded Spill
	s_waitcnt vmcnt(1)
	v_mul_f32_e32 v2, v4, v222
	s_delay_alu instid0(VALU_DEP_1) | instskip(SKIP_1) | instid1(VALU_DEP_1)
	v_fma_f32 v3, v5, v221, -v2
	v_mul_f32_e32 v2, v5, v222
	v_fmac_f32_e32 v2, v4, v221
	global_load_b64 v[4:5], v[0:1], off
	v_add_co_u32 v0, vcc_lo, v0, s4
	v_add_co_ci_u32_e32 v1, vcc_lo, s5, v1, vcc_lo
	s_waitcnt vmcnt(0)
	v_mul_f32_e32 v6, v4, v27
	s_delay_alu instid0(VALU_DEP_1) | instskip(SKIP_1) | instid1(VALU_DEP_1)
	v_fma_f32 v6, v5, v26, -v6
	v_mul_f32_e32 v5, v5, v27
	v_dual_fmac_f32 v5, v4, v26 :: v_dual_add_nc_u32 v4, 0x4c00, v203
	ds_store_2addr_b64 v4, v[2:3], v[5:6] offset0:16 offset1:160
	global_load_b64 v[214:215], v[18:19], off offset:3712
	global_load_b64 v[2:3], v[8:9], off
	v_add_co_u32 v5, vcc_lo, 0x6000, v16
	v_add_co_ci_u32_e32 v6, vcc_lo, 0, v17, vcc_lo
	s_clause 0x1
	global_load_b64 v[233:234], v[5:6], off offset:768
	global_load_b64 v[231:232], v[5:6], off offset:1920
	global_load_b64 v[5:6], v[0:1], off
	v_add_co_u32 v0, vcc_lo, v0, s12
	v_add_co_ci_u32_e32 v1, vcc_lo, s8, v1, vcc_lo
	s_clause 0x2
	scratch_store_b64 off, v[28:29], off offset:12
	scratch_store_b64 off, v[30:31], off offset:28
	;; [unrolled: 1-line block ×3, first 2 shown]
	s_waitcnt vmcnt(3)
	v_mul_f32_e32 v4, v2, v215
	s_delay_alu instid0(VALU_DEP_1) | instskip(SKIP_1) | instid1(VALU_DEP_1)
	v_fma_f32 v4, v3, v214, -v4
	v_mul_f32_e32 v3, v3, v215
	v_fmac_f32_e32 v3, v2, v214
	s_waitcnt vmcnt(0)
	v_mul_f32_e32 v2, v5, v234
	s_delay_alu instid0(VALU_DEP_1) | instskip(SKIP_2) | instid1(VALU_DEP_2)
	v_fma_f32 v7, v6, v233, -v2
	v_mul_f32_e32 v6, v6, v234
	v_add_nc_u32_e32 v2, 0x5c00, v203
	v_fmac_f32_e32 v6, v5, v233
	ds_store_2addr_b64 v2, v[3:4], v[6:7] offset0:80 offset1:224
	global_load_b64 v[2:3], v[10:11], off
	global_load_b64 v[5:6], v[0:1], off
	v_add_co_u32 v0, vcc_lo, v0, s4
	v_add_co_ci_u32_e32 v1, vcc_lo, s5, v1, vcc_lo
	s_waitcnt vmcnt(1)
	v_mul_f32_e32 v4, v2, v230
	s_delay_alu instid0(VALU_DEP_1) | instskip(SKIP_1) | instid1(VALU_DEP_1)
	v_fma_f32 v4, v3, v229, -v4
	v_mul_f32_e32 v3, v3, v230
	v_fmac_f32_e32 v3, v2, v229
	s_waitcnt vmcnt(0)
	v_mul_f32_e32 v2, v5, v29
	s_delay_alu instid0(VALU_DEP_1) | instskip(SKIP_2) | instid1(VALU_DEP_2)
	v_fma_f32 v7, v6, v28, -v2
	v_mul_f32_e32 v6, v6, v29
	v_add_co_u32 v2, vcc_lo, v0, s4
	v_fmac_f32_e32 v6, v5, v28
	ds_store_2addr_b64 v255, v[3:4], v[6:7] offset0:32 offset1:176
	v_add_co_ci_u32_e32 v3, vcc_lo, s5, v1, vcc_lo
	global_load_b64 v[0:1], v[0:1], off
	s_waitcnt vmcnt(0)
	v_mul_f32_e32 v4, v0, v33
	s_delay_alu instid0(VALU_DEP_1) | instskip(SKIP_1) | instid1(VALU_DEP_1)
	v_fma_f32 v5, v1, v32, -v4
	v_mul_f32_e32 v4, v1, v33
	v_fmac_f32_e32 v4, v0, v32
	v_add_co_u32 v0, vcc_lo, v2, s4
	v_add_co_ci_u32_e32 v1, vcc_lo, s5, v3, vcc_lo
	global_load_b64 v[2:3], v[2:3], off
	s_waitcnt vmcnt(0)
	v_mul_f32_e32 v6, v2, v254
	s_delay_alu instid0(VALU_DEP_1) | instskip(SKIP_1) | instid1(VALU_DEP_1)
	v_fma_f32 v7, v3, v253, -v6
	v_mul_f32_e32 v6, v3, v254
	v_fmac_f32_e32 v6, v2, v253
	v_add_co_u32 v2, vcc_lo, v0, s4
	;; [unrolled: 9-line block ×3, first 2 shown]
	v_add_co_ci_u32_e32 v1, vcc_lo, s5, v3, vcc_lo
	global_load_b64 v[2:3], v[2:3], off
	v_cmp_gt_u16_e32 vcc_lo, 0x48, v90
	global_load_b64 v[0:1], v[0:1], off
	s_waitcnt vmcnt(1)
	v_mul_f32_e32 v10, v2, v31
	s_delay_alu instid0(VALU_DEP_1) | instskip(SKIP_1) | instid1(VALU_DEP_1)
	v_fma_f32 v11, v3, v30, -v10
	v_mul_f32_e32 v10, v3, v31
	v_fmac_f32_e32 v10, v2, v30
	s_waitcnt vmcnt(0)
	v_mul_f32_e32 v2, v0, v232
	s_delay_alu instid0(VALU_DEP_1) | instskip(SKIP_1) | instid1(VALU_DEP_1)
	v_fma_f32 v2, v1, v231, -v2
	v_mul_f32_e32 v1, v1, v232
	v_fmac_f32_e32 v1, v0, v231
	ds_store_b64 v203, v[4:5] offset:8064
	ds_store_b64 v203, v[6:7] offset:12672
	;; [unrolled: 1-line block ×5, first 2 shown]
	s_load_b128 s[4:7], s[6:7], 0x0
	s_waitcnt lgkmcnt(0)
	s_waitcnt_vscnt null, 0x0
	s_barrier
	buffer_gl0_inv
	ds_load_2addr_b64 v[0:3], v203 offset1:144
	ds_load_2addr_b64 v[4:7], v220 offset1:144
	ds_load_2addr_b64 v[8:11], v159 offset1:144
	s_waitcnt lgkmcnt(1)
	v_add_f32_e32 v12, v0, v4
	s_waitcnt lgkmcnt(0)
	v_add_f32_e32 v24, v4, v8
	v_add_f32_e32 v26, v5, v9
	v_sub_f32_e32 v25, v5, v9
	v_add_f32_e32 v13, v1, v5
	v_sub_f32_e32 v27, v4, v8
	v_fma_f32 v0, -0.5, v24, v0
	v_fma_f32 v1, -0.5, v26, v1
	v_dual_add_f32 v5, v3, v7 :: v_dual_add_f32 v28, v6, v10
	s_delay_alu instid0(VALU_DEP_3) | instskip(NEXT) | instid1(VALU_DEP_3)
	v_dual_sub_f32 v29, v7, v11 :: v_dual_fmamk_f32 v24, v25, 0x3f5db3d7, v0
	v_dual_fmac_f32 v0, 0xbf5db3d7, v25 :: v_dual_fmamk_f32 v25, v27, 0xbf5db3d7, v1
	v_dual_add_f32 v4, v2, v6 :: v_dual_fmac_f32 v1, 0x3f5db3d7, v27
	v_add_nc_u32_e32 v162, 0x1000, v203
	v_dual_add_f32 v30, v7, v11 :: v_dual_sub_f32 v31, v6, v10
	v_dual_add_f32 v32, v12, v8 :: v_dual_add_f32 v33, v13, v9
	s_delay_alu instid0(VALU_DEP_4)
	v_dual_add_f32 v34, v4, v10 :: v_dual_add_f32 v35, v5, v11
	ds_load_2addr_b64 v[4:7], v162 offset0:64 offset1:208
	ds_load_2addr_b64 v[8:11], v235 offset0:64 offset1:208
	v_add_nc_u32_e32 v216, 0x5800, v203
	ds_load_2addr_b64 v[12:15], v216 offset0:64 offset1:208
	s_waitcnt lgkmcnt(1)
	v_add_f32_e32 v17, v5, v9
	s_waitcnt lgkmcnt(0)
	v_sub_f32_e32 v37, v9, v13
	v_dual_add_f32 v38, v9, v13 :: v_dual_add_f32 v9, v7, v11
	v_dual_add_f32 v42, v11, v15 :: v_dual_sub_f32 v39, v8, v12
	v_dual_sub_f32 v41, v11, v15 :: v_dual_add_f32 v16, v4, v8
	v_sub_f32_e32 v43, v10, v14
	s_delay_alu instid0(VALU_DEP_4) | instskip(NEXT) | instid1(VALU_DEP_4)
	v_add_f32_e32 v47, v9, v15
	v_dual_fmac_f32 v7, -0.5, v42 :: v_dual_add_f32 v36, v8, v12
	v_add_f32_e32 v8, v6, v10
	v_add_f32_e32 v40, v10, v14
	v_dual_add_f32 v44, v16, v12 :: v_dual_add_f32 v45, v17, v13
	s_delay_alu instid0(VALU_DEP_4) | instskip(NEXT) | instid1(VALU_DEP_4)
	v_fma_f32 v4, -0.5, v36, v4
	v_add_f32_e32 v46, v8, v14
	ds_load_2addr_b64 v[8:11], v255 offset0:32 offset1:176
	ds_load_2addr_b64 v[12:15], v236 offset0:32 offset1:176
	;; [unrolled: 1-line block ×3, first 2 shown]
	v_fma_f32 v5, -0.5, v38, v5
	s_waitcnt lgkmcnt(1)
	v_add_f32_e32 v20, v8, v12
	s_waitcnt lgkmcnt(0)
	v_dual_add_f32 v48, v12, v16 :: v_dual_sub_f32 v49, v13, v17
	v_add_f32_e32 v21, v9, v13
	v_dual_add_f32 v50, v13, v17 :: v_dual_sub_f32 v51, v12, v16
	v_dual_add_f32 v12, v10, v14 :: v_dual_add_f32 v13, v11, v15
	v_dual_add_f32 v52, v14, v18 :: v_dual_sub_f32 v53, v15, v19
	v_dual_add_f32 v54, v15, v19 :: v_dual_sub_f32 v55, v14, v18
	v_dual_add_f32 v56, v20, v16 :: v_dual_add_f32 v57, v21, v17
	s_delay_alu instid0(VALU_DEP_4)
	v_dual_add_f32 v58, v12, v18 :: v_dual_add_f32 v59, v13, v19
	ds_load_2addr_b64 v[12:15], v218 offset0:96 offset1:240
	ds_load_2addr_b64 v[16:19], v243 offset0:96 offset1:240
	;; [unrolled: 1-line block ×3, first 2 shown]
	s_waitcnt lgkmcnt(0)
	s_barrier
	buffer_gl0_inv
	v_add_f32_e32 v63, v13, v17
	v_dual_add_f32 v61, v16, v20 :: v_dual_sub_f32 v62, v17, v21
	v_dual_add_f32 v64, v17, v21 :: v_dual_sub_f32 v65, v16, v20
	v_dual_add_f32 v66, v18, v22 :: v_dual_add_f32 v17, v15, v19
	v_dual_add_f32 v68, v19, v23 :: v_dual_sub_f32 v69, v18, v22
	v_dual_add_f32 v63, v63, v21 :: v_dual_add_f32 v60, v12, v16
	v_add_f32_e32 v16, v14, v18
	v_fmamk_f32 v18, v37, 0x3f5db3d7, v4
	v_dual_fmac_f32 v4, 0xbf5db3d7, v37 :: v_dual_sub_f32 v67, v19, v23
	s_delay_alu instid0(VALU_DEP_3) | instskip(SKIP_2) | instid1(VALU_DEP_4)
	v_dual_add_f32 v71, v17, v23 :: v_dual_add_f32 v70, v16, v22
	v_add_f32_e32 v16, v32, v44
	v_dual_sub_f32 v22, v32, v44 :: v_dual_fmamk_f32 v19, v39, 0xbf5db3d7, v5
	v_dual_fmac_f32 v5, 0x3f5db3d7, v39 :: v_dual_mul_f32 v32, -0.5, v4
	v_mul_f32_e32 v27, 0xbf5db3d7, v18
	s_delay_alu instid0(VALU_DEP_3) | instskip(SKIP_1) | instid1(VALU_DEP_4)
	v_dual_add_f32 v17, v33, v45 :: v_dual_mul_f32 v26, 0x3f5db3d7, v19
	v_add_f32_e32 v60, v60, v20
	v_fmac_f32_e32 v32, 0x3f5db3d7, v5
	v_mul_f32_e32 v5, -0.5, v5
	s_delay_alu instid0(VALU_DEP_4) | instskip(NEXT) | instid1(VALU_DEP_3)
	v_dual_fmac_f32 v27, 0.5, v19 :: v_dual_fmac_f32 v26, 0.5, v18
	v_dual_sub_f32 v23, v33, v45 :: v_dual_add_f32 v20, v0, v32
	s_delay_alu instid0(VALU_DEP_3) | instskip(SKIP_1) | instid1(VALU_DEP_4)
	v_fmac_f32_e32 v5, 0xbf5db3d7, v4
	v_mul_lo_u16 v4, v90, 6
	v_dual_add_f32 v18, v24, v26 :: v_dual_add_f32 v19, v25, v27
	v_fma_f32 v2, -0.5, v28, v2
	s_delay_alu instid0(VALU_DEP_3) | instskip(SKIP_2) | instid1(VALU_DEP_3)
	v_dual_add_f32 v21, v1, v5 :: v_dual_and_b32 v4, 0xffff, v4
	v_and_b32_e32 v33, 0xff, v90
	v_add_co_u32 v44, null, 0x120, v83
	v_lshlrev_b32_e32 v217, 3, v4
	ds_store_b128 v217, v[16:19]
	ds_store_b128 v217, v[20:23] offset:16
	v_sub_f32_e32 v16, v24, v26
	v_dual_sub_f32 v18, v0, v32 :: v_dual_sub_f32 v17, v25, v27
	v_sub_f32_e32 v19, v1, v5
	v_dual_fmac_f32 v3, -0.5, v30 :: v_dual_fmamk_f32 v22, v29, 0x3f5db3d7, v2
	v_dual_fmac_f32 v2, 0xbf5db3d7, v29 :: v_dual_add_f32 v5, v35, v47
	ds_store_b128 v217, v[16:19] offset:32
	v_sub_f32_e32 v19, v35, v47
	v_fma_f32 v0, -0.5, v40, v6
	v_fmamk_f32 v6, v43, 0xbf5db3d7, v7
	v_fmac_f32_e32 v7, 0x3f5db3d7, v43
	v_fmamk_f32 v23, v31, 0xbf5db3d7, v3
	v_fmac_f32_e32 v3, 0x3f5db3d7, v31
	;; [unrolled: 2-line block ×3, first 2 shown]
	v_dual_mul_f32 v24, 0x3f5db3d7, v6 :: v_dual_mul_f32 v21, -0.5, v7
	v_add_f32_e32 v4, v34, v46
	v_sub_f32_e32 v18, v34, v46
	s_delay_alu instid0(VALU_DEP_4) | instskip(NEXT) | instid1(VALU_DEP_4)
	v_mul_f32_e32 v20, -0.5, v0
	v_fmac_f32_e32 v24, 0.5, v1
	v_mul_f32_e32 v1, 0xbf5db3d7, v1
	v_fmac_f32_e32 v21, 0xbf5db3d7, v0
	v_mul_u32_u24_e32 v0, 6, v91
	v_fmac_f32_e32 v20, 0x3f5db3d7, v7
	v_fma_f32 v9, -0.5, v50, v9
	v_dual_fmac_f32 v1, 0.5, v6 :: v_dual_add_f32 v6, v22, v24
	s_delay_alu instid0(VALU_DEP_4) | instskip(NEXT) | instid1(VALU_DEP_4)
	v_lshlrev_b32_e32 v219, 3, v0
	v_dual_add_f32 v16, v2, v20 :: v_dual_add_f32 v17, v3, v21
	s_delay_alu instid0(VALU_DEP_3)
	v_add_f32_e32 v7, v23, v1
	v_dual_sub_f32 v3, v3, v21 :: v_dual_sub_f32 v0, v22, v24
	v_dual_sub_f32 v2, v2, v20 :: v_dual_sub_f32 v1, v23, v1
	ds_store_b128 v219, v[4:7]
	ds_store_b128 v219, v[16:19] offset:16
	v_fma_f32 v4, -0.5, v64, v13
	v_fmamk_f32 v16, v51, 0xbf5db3d7, v9
	v_fmac_f32_e32 v9, 0x3f5db3d7, v51
	ds_store_b128 v219, v[0:3] offset:32
	v_fma_f32 v2, -0.5, v61, v12
	v_fmamk_f32 v5, v65, 0xbf5db3d7, v4
	v_fmac_f32_e32 v4, 0x3f5db3d7, v65
	v_fma_f32 v8, -0.5, v48, v8
	v_add_f32_e32 v1, v57, v63
	v_fmamk_f32 v3, v62, 0x3f5db3d7, v2
	v_fmac_f32_e32 v2, 0xbf5db3d7, v62
	v_mul_f32_e32 v13, 0x3f5db3d7, v5
	v_dual_mul_f32 v19, -0.5, v4 :: v_dual_fmamk_f32 v12, v49, 0x3f5db3d7, v8
	s_delay_alu instid0(VALU_DEP_3) | instskip(NEXT) | instid1(VALU_DEP_3)
	v_dual_mul_f32 v17, 0xbf5db3d7, v3 :: v_dual_mul_f32 v18, -0.5, v2
	v_fmac_f32_e32 v13, 0.5, v3
	s_delay_alu instid0(VALU_DEP_3) | instskip(SKIP_1) | instid1(VALU_DEP_4)
	v_fmac_f32_e32 v19, 0xbf5db3d7, v2
	v_mul_u32_u24_e32 v2, 6, v44
	v_fmac_f32_e32 v17, 0.5, v5
	v_fmac_f32_e32 v8, 0xbf5db3d7, v49
	v_fmac_f32_e32 v18, 0x3f5db3d7, v4
	v_add_f32_e32 v0, v56, v60
	v_lshlrev_b32_e32 v20, 3, v2
	v_add_f32_e32 v2, v12, v13
	v_add_f32_e32 v3, v16, v17
	v_fmac_f32_e32 v15, -0.5, v68
	v_add_co_u32 v68, null, 0x1b0, v83
	v_dual_sub_f32 v6, v56, v60 :: v_dual_sub_f32 v7, v57, v63
	s_delay_alu instid0(VALU_DEP_2)
	v_dual_add_f32 v4, v8, v18 :: v_dual_and_b32 v45, 0xffff, v68
	v_add_f32_e32 v5, v9, v19
	scratch_store_b32 off, v20, off offset:84 ; 4-byte Folded Spill
	ds_store_b128 v20, v[0:3]
	ds_store_b128 v20, v[4:7] offset:16
	v_sub_f32_e32 v0, v12, v13
	v_sub_f32_e32 v2, v8, v18
	;; [unrolled: 1-line block ×4, first 2 shown]
	v_fmamk_f32 v4, v69, 0xbf5db3d7, v15
	v_fmac_f32_e32 v15, 0x3f5db3d7, v69
	v_fmac_f32_e32 v11, -0.5, v54
	v_fma_f32 v10, -0.5, v52, v10
	ds_store_b128 v20, v[0:3] offset:32
	v_fma_f32 v2, -0.5, v66, v14
	v_dual_mul_f32 v9, -0.5, v15 :: v_dual_mul_f32 v14, 0x3f5db3d7, v4
	v_fmamk_f32 v12, v53, 0x3f5db3d7, v10
	v_fmamk_f32 v13, v55, 0xbf5db3d7, v11
	s_delay_alu instid0(VALU_DEP_4) | instskip(SKIP_3) | instid1(VALU_DEP_4)
	v_fmamk_f32 v3, v67, 0x3f5db3d7, v2
	v_fmac_f32_e32 v2, 0xbf5db3d7, v67
	v_fmac_f32_e32 v10, 0xbf5db3d7, v53
	v_dual_fmac_f32 v11, 0x3f5db3d7, v55 :: v_dual_add_f32 v0, v58, v70
	v_fmac_f32_e32 v14, 0.5, v3
	s_delay_alu instid0(VALU_DEP_4) | instskip(SKIP_3) | instid1(VALU_DEP_4)
	v_mul_f32_e32 v8, -0.5, v2
	v_fmac_f32_e32 v9, 0xbf5db3d7, v2
	v_mul_u32_u24_e32 v2, 6, v68
	v_dual_add_f32 v1, v59, v71 :: v_dual_sub_f32 v6, v58, v70
	v_fmac_f32_e32 v8, 0x3f5db3d7, v15
	s_delay_alu instid0(VALU_DEP_3) | instskip(SKIP_2) | instid1(VALU_DEP_3)
	v_dual_mul_f32 v15, 0xbf5db3d7, v3 :: v_dual_lshlrev_b32 v16, 3, v2
	v_dual_add_f32 v2, v12, v14 :: v_dual_sub_f32 v7, v59, v71
	v_add_f32_e32 v5, v11, v9
	v_fmac_f32_e32 v15, 0.5, v4
	v_add_f32_e32 v4, v10, v8
	scratch_store_b32 off, v16, off offset:80 ; 4-byte Folded Spill
	v_and_b32_e32 v32, 0xffff, v91
	v_dual_mov_b32 v158, v156 :: v_dual_add_f32 v3, v13, v15
	ds_store_b128 v16, v[0:3]
	ds_store_b128 v16, v[4:7] offset:16
	v_dual_sub_f32 v3, v11, v9 :: v_dual_sub_f32 v0, v12, v14
	v_dual_sub_f32 v2, v10, v8 :: v_dual_sub_f32 v1, v13, v15
	ds_store_b128 v16, v[0:3] offset:32
	v_mul_u32_u24_e32 v0, 0xaaab, v32
	s_waitcnt lgkmcnt(0)
	s_waitcnt_vscnt null, 0x0
	s_barrier
	buffer_gl0_inv
	v_lshrrev_b32_e32 v34, 18, v0
	v_mul_lo_u16 v0, 0xab, v33
	s_delay_alu instid0(VALU_DEP_1) | instskip(NEXT) | instid1(VALU_DEP_3)
	v_lshrrev_b16 v36, 10, v0
	v_mul_lo_u16 v0, v34, 6
	s_delay_alu instid0(VALU_DEP_1) | instskip(NEXT) | instid1(VALU_DEP_3)
	v_sub_nc_u16 v35, v91, v0
	v_mul_lo_u16 v0, v36, 6
	s_delay_alu instid0(VALU_DEP_2) | instskip(NEXT) | instid1(VALU_DEP_2)
	v_mul_lo_u16 v1, v35, 40
	v_sub_nc_u16 v0, v90, v0
	s_delay_alu instid0(VALU_DEP_2) | instskip(NEXT) | instid1(VALU_DEP_2)
	v_and_b32_e32 v1, 0xffff, v1
	v_and_b32_e32 v37, 0xff, v0
	s_delay_alu instid0(VALU_DEP_2) | instskip(NEXT) | instid1(VALU_DEP_2)
	v_add_co_u32 v4, s8, s10, v1
	v_mad_u64_u32 v[0:1], null, v37, 40, s[10:11]
	v_add_co_ci_u32_e64 v5, null, s11, 0, s8
	s_clause 0x3
	global_load_b64 v[204:205], v[0:1], off offset:32
	global_load_b128 v[136:139], v[0:1], off
	global_load_b128 v[152:155], v[0:1], off offset:16
	global_load_b128 v[144:147], v[4:5], off
	ds_load_2addr_b64 v[10:13], v162 offset0:64 offset1:208
	s_waitcnt vmcnt(2) lgkmcnt(0)
	v_mul_f32_e32 v0, v11, v137
	v_mul_f32_e32 v7, v10, v137
	s_waitcnt vmcnt(0)
	v_mul_f32_e32 v9, v12, v145
	s_delay_alu instid0(VALU_DEP_3) | instskip(SKIP_1) | instid1(VALU_DEP_3)
	v_fma_f32 v6, v10, v136, -v0
	v_mul_f32_e32 v0, v13, v145
	v_fmac_f32_e32 v9, v13, v144
	v_fmac_f32_e32 v7, v11, v136
	s_delay_alu instid0(VALU_DEP_3) | instskip(SKIP_4) | instid1(VALU_DEP_2)
	v_fma_f32 v8, v12, v144, -v0
	ds_load_2addr_b64 v[12:15], v220 offset1:144
	s_waitcnt lgkmcnt(0)
	v_mul_f32_e32 v17, v14, v147
	v_mul_f32_e32 v11, v12, v139
	v_dual_fmac_f32 v17, v15, v146 :: v_dual_mul_f32 v0, v13, v139
	s_delay_alu instid0(VALU_DEP_2) | instskip(NEXT) | instid1(VALU_DEP_2)
	v_fmac_f32_e32 v11, v13, v138
	v_fma_f32 v10, v12, v138, -v0
	v_mul_f32_e32 v0, v15, v147
	s_delay_alu instid0(VALU_DEP_1)
	v_fma_f32 v16, v14, v146, -v0
	ds_load_2addr_b64 v[12:15], v235 offset0:64 offset1:208
	s_clause 0x1
	global_load_b64 v[201:202], v[4:5], off offset:32
	global_load_b128 v[148:151], v[4:5], off offset:16
	s_waitcnt lgkmcnt(0)
	v_mul_f32_e32 v0, v13, v153
	v_mul_f32_e32 v19, v12, v153
	s_delay_alu instid0(VALU_DEP_2) | instskip(SKIP_1) | instid1(VALU_DEP_2)
	v_fma_f32 v18, v12, v152, -v0
	s_waitcnt vmcnt(0)
	v_dual_fmac_f32 v19, v13, v152 :: v_dual_mul_f32 v0, v15, v149
	v_mul_f32_e32 v5, v14, v149
	s_delay_alu instid0(VALU_DEP_2) | instskip(NEXT) | instid1(VALU_DEP_2)
	v_fma_f32 v4, v14, v148, -v0
	v_fmac_f32_e32 v5, v15, v148
	ds_load_2addr_b64 v[12:15], v159 offset1:144
	s_waitcnt lgkmcnt(0)
	v_mul_f32_e32 v0, v13, v155
	v_mul_f32_e32 v25, v12, v155
	;; [unrolled: 1-line block ×3, first 2 shown]
	s_delay_alu instid0(VALU_DEP_3) | instskip(NEXT) | instid1(VALU_DEP_3)
	v_fma_f32 v24, v12, v154, -v0
	v_dual_mul_f32 v0, v15, v151 :: v_dual_fmac_f32 v25, v13, v154
	s_delay_alu instid0(VALU_DEP_3) | instskip(NEXT) | instid1(VALU_DEP_2)
	v_fmac_f32_e32 v27, v15, v150
	v_fma_f32 v26, v14, v150, -v0
	ds_load_2addr_b64 v[12:15], v216 offset0:64 offset1:208
	v_sub_f32_e32 v63, v11, v25
	s_waitcnt lgkmcnt(0)
	v_mul_f32_e32 v0, v13, v205
	s_delay_alu instid0(VALU_DEP_1) | instskip(SKIP_2) | instid1(VALU_DEP_2)
	v_fma_f32 v28, v12, v204, -v0
	v_mul_f32_e32 v12, v12, v205
	v_mul_f32_e32 v0, v15, v202
	v_fmac_f32_e32 v12, v13, v204
	s_delay_alu instid0(VALU_DEP_2) | instskip(SKIP_2) | instid1(VALU_DEP_2)
	v_fma_f32 v13, v14, v201, -v0
	v_and_b32_e32 v46, 0xffff, v44
	v_mul_f32_e32 v14, v14, v202
	v_mul_u32_u24_e32 v0, 0xaaab, v46
	s_delay_alu instid0(VALU_DEP_2) | instskip(NEXT) | instid1(VALU_DEP_2)
	v_fmac_f32_e32 v14, v15, v201
	v_lshrrev_b32_e32 v15, 18, v0
	v_mul_u32_u24_e32 v0, 0xaaab, v45
	s_delay_alu instid0(VALU_DEP_1) | instskip(NEXT) | instid1(VALU_DEP_3)
	v_lshrrev_b32_e32 v29, 18, v0
	v_mul_lo_u16 v0, v15, 6
	s_delay_alu instid0(VALU_DEP_1) | instskip(NEXT) | instid1(VALU_DEP_3)
	v_sub_nc_u16 v30, v44, v0
	v_mul_lo_u16 v0, v29, 6
	s_delay_alu instid0(VALU_DEP_1) | instskip(NEXT) | instid1(VALU_DEP_3)
	v_sub_nc_u16 v31, v68, v0
	v_mul_lo_u16 v0, v30, 40
	s_delay_alu instid0(VALU_DEP_2) | instskip(NEXT) | instid1(VALU_DEP_2)
	v_mul_lo_u16 v1, v31, 40
	v_and_b32_e32 v0, 0xffff, v0
	s_delay_alu instid0(VALU_DEP_2) | instskip(NEXT) | instid1(VALU_DEP_2)
	v_and_b32_e32 v2, 0xffff, v1
	v_add_co_u32 v0, s8, s10, v0
	s_delay_alu instid0(VALU_DEP_1) | instskip(NEXT) | instid1(VALU_DEP_3)
	v_add_co_ci_u32_e64 v1, null, s11, 0, s8
	v_add_co_u32 v2, s8, s10, v2
	s_delay_alu instid0(VALU_DEP_1)
	v_add_co_ci_u32_e64 v3, null, s11, 0, s8
	s_clause 0x2
	global_load_b64 v[165:166], v[0:1], off offset:32
	global_load_b128 v[124:127], v[0:1], off
	global_load_b128 v[140:143], v[0:1], off offset:16
	ds_load_2addr_b64 v[20:23], v218 offset0:96 offset1:240
	ds_load_2addr_b64 v[38:41], v243 offset0:96 offset1:240
	global_load_b128 v[128:131], v[2:3], off
	s_waitcnt vmcnt(2) lgkmcnt(1)
	v_dual_add_f32 v1, v10, v24 :: v_dual_mul_f32 v0, v21, v125
	v_mul_f32_e32 v48, v20, v125
	s_waitcnt vmcnt(1) lgkmcnt(0)
	v_mul_f32_e32 v52, v38, v141
	s_waitcnt vmcnt(0)
	v_mul_f32_e32 v50, v22, v129
	v_fma_f32 v47, v20, v124, -v0
	v_mul_f32_e32 v0, v23, v129
	v_fmac_f32_e32 v48, v21, v124
	v_fmac_f32_e32 v52, v39, v140
	;; [unrolled: 1-line block ×3, first 2 shown]
	s_delay_alu instid0(VALU_DEP_4)
	v_fma_f32 v49, v22, v128, -v0
	ds_load_2addr_b64 v[20:23], v236 offset0:32 offset1:176
	s_clause 0x1
	global_load_b64 v[167:168], v[2:3], off offset:32
	global_load_b128 v[132:135], v[2:3], off offset:16
	v_add_f32_e32 v2, v11, v25
	v_add_f32_e32 v3, v7, v19
	s_waitcnt lgkmcnt(0)
	v_mul_f32_e32 v0, v21, v127
	s_delay_alu instid0(VALU_DEP_1) | instskip(SKIP_1) | instid1(VALU_DEP_1)
	v_fma_f32 v51, v20, v126, -v0
	v_mul_f32_e32 v20, v20, v127
	v_fmac_f32_e32 v20, v21, v126
	v_mul_f32_e32 v0, v23, v131
	s_delay_alu instid0(VALU_DEP_1) | instskip(SKIP_2) | instid1(VALU_DEP_2)
	v_fma_f32 v21, v22, v130, -v0
	v_mul_f32_e32 v22, v22, v131
	v_mul_f32_e32 v0, v39, v141
	v_fmac_f32_e32 v22, v23, v130
	s_delay_alu instid0(VALU_DEP_2) | instskip(SKIP_3) | instid1(VALU_DEP_2)
	v_fma_f32 v23, v38, v140, -v0
	s_waitcnt vmcnt(0)
	v_mul_f32_e32 v0, v41, v133
	v_mul_f32_e32 v54, v40, v133
	v_fma_f32 v53, v40, v132, -v0
	s_delay_alu instid0(VALU_DEP_2)
	v_fmac_f32_e32 v54, v41, v132
	ds_load_2addr_b64 v[38:41], v237 offset0:32 offset1:176
	s_waitcnt lgkmcnt(0)
	v_mul_f32_e32 v0, v39, v143
	v_mul_f32_e32 v56, v38, v143
	;; [unrolled: 1-line block ×3, first 2 shown]
	s_delay_alu instid0(VALU_DEP_3) | instskip(SKIP_1) | instid1(VALU_DEP_4)
	v_fma_f32 v55, v38, v142, -v0
	v_mul_f32_e32 v0, v41, v135
	v_fmac_f32_e32 v56, v39, v142
	s_delay_alu instid0(VALU_DEP_4) | instskip(NEXT) | instid1(VALU_DEP_3)
	v_fmac_f32_e32 v58, v41, v134
	v_fma_f32 v57, v40, v134, -v0
	ds_load_2addr_b64 v[38:41], v156 offset0:96 offset1:240
	s_waitcnt lgkmcnt(0)
	v_mul_f32_e32 v0, v39, v166
	v_mul_f32_e32 v60, v38, v166
	;; [unrolled: 1-line block ×3, first 2 shown]
	s_delay_alu instid0(VALU_DEP_3) | instskip(SKIP_1) | instid1(VALU_DEP_4)
	v_fma_f32 v59, v38, v165, -v0
	v_mul_f32_e32 v0, v41, v168
	v_fmac_f32_e32 v60, v39, v165
	s_delay_alu instid0(VALU_DEP_4) | instskip(NEXT) | instid1(VALU_DEP_3)
	v_fmac_f32_e32 v62, v41, v167
	v_fma_f32 v61, v40, v167, -v0
	v_and_b32_e32 v0, 0xffff, v36
	ds_load_2addr_b64 v[40:43], v255 offset0:32 offset1:176
	v_mul_u32_u24_e32 v0, 36, v0
	s_delay_alu instid0(VALU_DEP_1)
	v_add_lshl_u32 v67, v0, v37, 3
	ds_load_2addr_b64 v[36:39], v203 offset1:144
	s_waitcnt lgkmcnt(0)
	s_barrier
	buffer_gl0_inv
	v_add_f32_e32 v0, v36, v10
	v_sub_f32_e32 v10, v10, v24
	v_fma_f32 v36, -0.5, v1, v36
	s_delay_alu instid0(VALU_DEP_3) | instskip(SKIP_2) | instid1(VALU_DEP_4)
	v_add_f32_e32 v24, v0, v24
	v_add_f32_e32 v0, v37, v11
	v_fma_f32 v37, -0.5, v2, v37
	v_fmamk_f32 v65, v63, 0x3f5db3d7, v36
	s_delay_alu instid0(VALU_DEP_3)
	v_dual_fmac_f32 v36, 0xbf5db3d7, v63 :: v_dual_add_f32 v11, v0, v25
	v_add_f32_e32 v0, v19, v12
	v_add_f32_e32 v25, v18, v28
	v_sub_f32_e32 v19, v19, v12
	v_add_f32_e32 v12, v3, v12
	v_fmamk_f32 v66, v10, 0xbf5db3d7, v37
	v_dual_fmac_f32 v7, -0.5, v0 :: v_dual_add_f32 v0, v6, v18
	v_sub_f32_e32 v18, v18, v28
	v_dual_fmac_f32 v6, -0.5, v25 :: v_dual_fmac_f32 v37, 0x3f5db3d7, v10
	v_add_f32_e32 v1, v11, v12
	s_delay_alu instid0(VALU_DEP_4) | instskip(NEXT) | instid1(VALU_DEP_4)
	v_add_f32_e32 v28, v0, v28
	v_fmamk_f32 v0, v18, 0xbf5db3d7, v7
	s_delay_alu instid0(VALU_DEP_4) | instskip(SKIP_2) | instid1(VALU_DEP_4)
	v_fmamk_f32 v3, v19, 0x3f5db3d7, v6
	v_fmac_f32_e32 v6, 0xbf5db3d7, v19
	v_fmac_f32_e32 v7, 0x3f5db3d7, v18
	v_mul_f32_e32 v25, 0x3f5db3d7, v0
	s_delay_alu instid0(VALU_DEP_4) | instskip(NEXT) | instid1(VALU_DEP_2)
	v_mul_f32_e32 v64, 0xbf5db3d7, v3
	v_dual_mul_f32 v10, -0.5, v6 :: v_dual_fmac_f32 v25, 0.5, v3
	s_delay_alu instid0(VALU_DEP_2) | instskip(NEXT) | instid1(VALU_DEP_2)
	v_fmac_f32_e32 v64, 0.5, v0
	v_fmac_f32_e32 v10, 0x3f5db3d7, v7
	v_dual_mul_f32 v7, -0.5, v7 :: v_dual_add_f32 v0, v24, v28
	s_delay_alu instid0(VALU_DEP_3) | instskip(NEXT) | instid1(VALU_DEP_2)
	v_dual_add_f32 v2, v65, v25 :: v_dual_add_f32 v3, v66, v64
	v_fmac_f32_e32 v7, 0xbf5db3d7, v6
	v_sub_f32_e32 v6, v16, v26
	ds_store_2addr_b64 v67, v[0:1], v[2:3] offset1:6
	v_sub_f32_e32 v0, v24, v28
	v_dual_sub_f32 v1, v11, v12 :: v_dual_add_f32 v2, v36, v10
	v_dual_add_f32 v3, v37, v7 :: v_dual_add_f32 v12, v4, v13
	ds_store_2addr_b64 v67, v[2:3], v[0:1] offset0:12 offset1:18
	v_dual_sub_f32 v0, v65, v25 :: v_dual_sub_f32 v1, v66, v64
	v_dual_sub_f32 v2, v36, v10 :: v_dual_sub_f32 v3, v37, v7
	v_sub_f32_e32 v10, v17, v27
	ds_store_2addr_b64 v67, v[0:1], v[2:3] offset0:24 offset1:30
	v_add_f32_e32 v1, v38, v16
	v_dual_add_f32 v3, v17, v27 :: v_dual_add_f32 v2, v16, v26
	v_mad_u16 v0, v34, 36, v35
	s_delay_alu instid0(VALU_DEP_3) | instskip(SKIP_1) | instid1(VALU_DEP_4)
	v_add_f32_e32 v7, v1, v26
	v_add_f32_e32 v1, v39, v17
	v_fmac_f32_e32 v39, -0.5, v3
	v_add_f32_e32 v3, v9, v5
	v_fma_f32 v17, -0.5, v2, v38
	s_delay_alu instid0(VALU_DEP_4) | instskip(NEXT) | instid1(VALU_DEP_4)
	v_dual_add_f32 v11, v1, v27 :: v_dual_and_b32 v0, 0xffff, v0
	v_fmamk_f32 v19, v6, 0xbf5db3d7, v39
	v_add_f32_e32 v1, v5, v14
	s_delay_alu instid0(VALU_DEP_4) | instskip(NEXT) | instid1(VALU_DEP_4)
	v_dual_sub_f32 v5, v5, v14 :: v_dual_fmamk_f32 v18, v10, 0x3f5db3d7, v17
	v_dual_fmac_f32 v17, 0xbf5db3d7, v10 :: v_dual_lshlrev_b32 v24, 3, v0
	s_delay_alu instid0(VALU_DEP_3)
	v_fmac_f32_e32 v9, -0.5, v1
	v_add_f32_e32 v1, v8, v4
	v_sub_f32_e32 v4, v4, v13
	v_fmac_f32_e32 v8, -0.5, v12
	v_add_f32_e32 v12, v3, v14
	v_fmac_f32_e32 v39, 0x3f5db3d7, v6
	v_add_f32_e32 v13, v1, v13
	v_fmamk_f32 v1, v4, 0xbf5db3d7, v9
	v_fmamk_f32 v3, v5, 0x3f5db3d7, v8
	v_fmac_f32_e32 v8, 0xbf5db3d7, v5
	s_delay_alu instid0(VALU_DEP_4) | instskip(NEXT) | instid1(VALU_DEP_4)
	v_dual_fmac_f32 v9, 0x3f5db3d7, v4 :: v_dual_add_f32 v0, v7, v13
	v_mul_f32_e32 v14, 0x3f5db3d7, v1
	s_delay_alu instid0(VALU_DEP_4) | instskip(NEXT) | instid1(VALU_DEP_3)
	v_mul_f32_e32 v16, 0xbf5db3d7, v3
	v_dual_mul_f32 v4, -0.5, v8 :: v_dual_mul_f32 v5, -0.5, v9
	v_sub_f32_e32 v10, v23, v59
	s_delay_alu instid0(VALU_DEP_4) | instskip(NEXT) | instid1(VALU_DEP_4)
	v_fmac_f32_e32 v14, 0.5, v3
	v_dual_fmac_f32 v16, 0.5, v1 :: v_dual_add_f32 v1, v11, v12
	s_delay_alu instid0(VALU_DEP_4) | instskip(NEXT) | instid1(VALU_DEP_3)
	v_fmac_f32_e32 v4, 0x3f5db3d7, v9
	v_dual_fmac_f32 v5, 0xbf5db3d7, v8 :: v_dual_add_f32 v2, v18, v14
	s_delay_alu instid0(VALU_DEP_3)
	v_add_f32_e32 v3, v19, v16
	v_dual_add_f32 v8, v48, v52 :: v_dual_add_f32 v9, v23, v59
	ds_store_2addr_b64 v24, v[0:1], v[2:3] offset1:6
	v_sub_f32_e32 v0, v7, v13
	v_sub_f32_e32 v1, v11, v12
	v_dual_add_f32 v2, v17, v4 :: v_dual_add_f32 v3, v39, v5
	ds_store_2addr_b64 v24, v[2:3], v[0:1] offset0:12 offset1:18
	v_dual_sub_f32 v1, v39, v5 :: v_dual_sub_f32 v0, v17, v4
	v_dual_sub_f32 v2, v18, v14 :: v_dual_sub_f32 v3, v19, v16
	v_sub_f32_e32 v4, v51, v55
	ds_store_2addr_b64 v24, v[2:3], v[0:1] offset0:24 offset1:30
	v_add_f32_e32 v1, v40, v51
	v_add_f32_e32 v2, v51, v55
	v_mad_u16 v0, v15, 36, v30
	s_delay_alu instid0(VALU_DEP_3) | instskip(SKIP_1) | instid1(VALU_DEP_4)
	v_add_f32_e32 v5, v1, v55
	v_add_f32_e32 v1, v41, v20
	v_fma_f32 v14, -0.5, v2, v40
	s_delay_alu instid0(VALU_DEP_4) | instskip(NEXT) | instid1(VALU_DEP_3)
	v_and_b32_e32 v0, 0xffff, v0
	v_add_f32_e32 v7, v1, v56
	v_add_f32_e32 v1, v52, v60
	s_delay_alu instid0(VALU_DEP_3)
	v_lshlrev_b32_e32 v18, 3, v0
	scratch_store_b32 off, v24, off offset:92 ; 4-byte Folded Spill
	v_dual_fmac_f32 v48, -0.5, v1 :: v_dual_add_f32 v1, v47, v23
	v_fmac_f32_e32 v47, -0.5, v9
	scratch_store_b32 off, v18, off offset:88 ; 4-byte Folded Spill
	v_add_f32_e32 v11, v1, v59
	v_sub_f32_e32 v9, v52, v60
	v_fmamk_f32 v1, v10, 0xbf5db3d7, v48
	v_add_f32_e32 v3, v20, v56
	v_sub_f32_e32 v6, v20, v56
	v_add_f32_e32 v0, v5, v11
	s_delay_alu instid0(VALU_DEP_4) | instskip(NEXT) | instid1(VALU_DEP_4)
	v_dual_fmamk_f32 v12, v9, 0x3f5db3d7, v47 :: v_dual_mul_f32 v13, 0x3f5db3d7, v1
	v_fma_f32 v15, -0.5, v3, v41
	s_delay_alu instid0(VALU_DEP_4) | instskip(SKIP_1) | instid1(VALU_DEP_4)
	v_fmamk_f32 v16, v6, 0x3f5db3d7, v14
	v_fmac_f32_e32 v47, 0xbf5db3d7, v9
	v_dual_fmac_f32 v48, 0x3f5db3d7, v10 :: v_dual_fmac_f32 v13, 0.5, v12
	s_delay_alu instid0(VALU_DEP_4) | instskip(SKIP_1) | instid1(VALU_DEP_3)
	v_dual_mul_f32 v12, 0xbf5db3d7, v12 :: v_dual_fmamk_f32 v17, v4, 0xbf5db3d7, v15
	v_add_f32_e32 v8, v8, v60
	v_dual_fmac_f32 v15, 0x3f5db3d7, v4 :: v_dual_add_f32 v2, v16, v13
	s_delay_alu instid0(VALU_DEP_3) | instskip(NEXT) | instid1(VALU_DEP_3)
	v_fmac_f32_e32 v12, 0.5, v1
	v_dual_mul_f32 v4, -0.5, v47 :: v_dual_add_f32 v1, v7, v8
	v_dual_fmac_f32 v14, 0xbf5db3d7, v6 :: v_dual_sub_f32 v9, v53, v61
	s_delay_alu instid0(VALU_DEP_3) | instskip(NEXT) | instid1(VALU_DEP_3)
	v_add_f32_e32 v3, v17, v12
	v_fmac_f32_e32 v4, 0x3f5db3d7, v48
	v_sub_f32_e32 v6, v22, v58
	ds_store_2addr_b64 v18, v[0:1], v[2:3] offset1:6
	v_dual_sub_f32 v0, v5, v11 :: v_dual_mul_f32 v5, -0.5, v48
	v_sub_f32_e32 v1, v7, v8
	v_add_f32_e32 v2, v14, v4
	s_delay_alu instid0(VALU_DEP_3) | instskip(NEXT) | instid1(VALU_DEP_1)
	v_dual_add_f32 v8, v53, v61 :: v_dual_fmac_f32 v5, 0xbf5db3d7, v47
	v_add_f32_e32 v3, v15, v5
	ds_store_2addr_b64 v18, v[2:3], v[0:1] offset0:12 offset1:18
	v_dual_sub_f32 v0, v16, v13 :: v_dual_sub_f32 v1, v17, v12
	v_dual_sub_f32 v2, v14, v4 :: v_dual_sub_f32 v3, v15, v5
	v_sub_f32_e32 v4, v21, v57
	ds_store_2addr_b64 v18, v[0:1], v[2:3] offset0:24 offset1:30
	v_add_f32_e32 v1, v42, v21
	v_dual_add_f32 v3, v22, v58 :: v_dual_add_f32 v2, v21, v57
	v_mad_u16 v0, v29, 36, v31
	s_delay_alu instid0(VALU_DEP_3) | instskip(SKIP_1) | instid1(VALU_DEP_4)
	v_add_f32_e32 v5, v1, v57
	v_add_f32_e32 v1, v43, v22
	v_fmac_f32_e32 v43, -0.5, v3
	v_add_f32_e32 v3, v50, v54
	v_fma_f32 v14, -0.5, v2, v42
	s_delay_alu instid0(VALU_DEP_4) | instskip(SKIP_1) | instid1(VALU_DEP_4)
	v_dual_add_f32 v7, v1, v58 :: v_dual_and_b32 v0, 0xffff, v0
	v_add_f32_e32 v1, v54, v62
	v_add_f32_e32 v11, v3, v62
	s_delay_alu instid0(VALU_DEP_4) | instskip(NEXT) | instid1(VALU_DEP_4)
	v_fmamk_f32 v15, v6, 0x3f5db3d7, v14
	v_dual_fmamk_f32 v16, v4, 0xbf5db3d7, v43 :: v_dual_lshlrev_b32 v17, 3, v0
	s_delay_alu instid0(VALU_DEP_4) | instskip(SKIP_4) | instid1(VALU_DEP_4)
	v_fmac_f32_e32 v50, -0.5, v1
	v_add_f32_e32 v1, v49, v53
	v_dual_fmac_f32 v49, -0.5, v8 :: v_dual_sub_f32 v8, v54, v62
	v_fmac_f32_e32 v43, 0x3f5db3d7, v4
	v_fmac_f32_e32 v14, 0xbf5db3d7, v6
	v_add_f32_e32 v10, v1, v61
	v_fmamk_f32 v1, v9, 0xbf5db3d7, v50
	v_fmamk_f32 v3, v8, 0x3f5db3d7, v49
	v_fmac_f32_e32 v49, 0xbf5db3d7, v8
	v_fmac_f32_e32 v50, 0x3f5db3d7, v9
	v_add_f32_e32 v0, v5, v10
	v_mul_f32_e32 v12, 0x3f5db3d7, v1
	s_delay_alu instid0(VALU_DEP_4)
	v_dual_mul_f32 v13, 0xbf5db3d7, v3 :: v_dual_mul_f32 v4, -0.5, v49
	s_clause 0x1
	scratch_store_b32 off, v67, off offset:96
	scratch_store_b32 off, v17, off offset:100
	v_dual_fmac_f32 v12, 0.5, v3 :: v_dual_fmac_f32 v13, 0.5, v1
	v_dual_add_f32 v1, v7, v11 :: v_dual_fmac_f32 v4, 0x3f5db3d7, v50
	s_delay_alu instid0(VALU_DEP_2) | instskip(SKIP_4) | instid1(VALU_DEP_2)
	v_dual_add_f32 v2, v15, v12 :: v_dual_add_f32 v3, v16, v13
	ds_store_2addr_b64 v17, v[0:1], v[2:3] offset1:6
	v_sub_f32_e32 v0, v5, v10
	v_mul_f32_e32 v5, -0.5, v50
	v_dual_sub_f32 v1, v7, v11 :: v_dual_add_f32 v2, v14, v4
	v_fmac_f32_e32 v5, 0xbf5db3d7, v49
	s_delay_alu instid0(VALU_DEP_1)
	v_add_f32_e32 v3, v43, v5
	ds_store_2addr_b64 v17, v[2:3], v[0:1] offset0:12 offset1:18
	v_dual_sub_f32 v1, v43, v5 :: v_dual_sub_f32 v0, v14, v4
	v_dual_sub_f32 v2, v15, v12 :: v_dual_sub_f32 v3, v16, v13
	ds_store_2addr_b64 v17, v[2:3], v[0:1] offset0:24 offset1:30
	v_mul_lo_u16 v0, v33, 57
	v_mul_u32_u24_e32 v1, 0xe38f, v32
	s_waitcnt lgkmcnt(0)
	s_waitcnt_vscnt null, 0x0
	s_barrier
	buffer_gl0_inv
	v_lshrrev_b16 v54, 11, v0
	v_lshrrev_b32_e32 v52, 21, v1
	s_delay_alu instid0(VALU_DEP_2) | instskip(NEXT) | instid1(VALU_DEP_2)
	v_mul_lo_u16 v0, v54, 36
	v_mul_lo_u16 v1, v52, 36
	s_delay_alu instid0(VALU_DEP_2) | instskip(NEXT) | instid1(VALU_DEP_2)
	v_sub_nc_u16 v0, v90, v0
	v_sub_nc_u16 v53, v91, v1
	s_delay_alu instid0(VALU_DEP_2) | instskip(NEXT) | instid1(VALU_DEP_2)
	v_and_b32_e32 v55, 0xff, v0
	v_mul_lo_u16 v0, v53, 40
	s_delay_alu instid0(VALU_DEP_2) | instskip(NEXT) | instid1(VALU_DEP_2)
	v_mad_u64_u32 v[2:3], null, v55, 40, s[10:11]
	v_and_b32_e32 v0, 0xffff, v0
	s_clause 0x2
	global_load_b64 v[169:170], v[2:3], off offset:272
	global_load_b128 v[60:63], v[2:3], off offset:240
	global_load_b128 v[120:123], v[2:3], off offset:256
	v_add_co_u32 v0, s8, s10, v0
	s_delay_alu instid0(VALU_DEP_1)
	v_add_co_ci_u32_e64 v1, null, s11, 0, s8
	ds_load_2addr_b64 v[36:39], v162 offset0:64 offset1:208
	ds_load_2addr_b64 v[47:50], v235 offset0:64 offset1:208
	global_load_b128 v[112:115], v[0:1], off offset:240
	s_waitcnt vmcnt(2) lgkmcnt(1)
	v_mul_f32_e32 v2, v37, v61
	v_mul_f32_e32 v5, v36, v61
	s_waitcnt vmcnt(1) lgkmcnt(0)
	v_mul_f32_e32 v13, v47, v121
	s_delay_alu instid0(VALU_DEP_3) | instskip(NEXT) | instid1(VALU_DEP_3)
	v_fma_f32 v4, v36, v60, -v2
	v_fmac_f32_e32 v5, v37, v60
	s_waitcnt vmcnt(0)
	s_delay_alu instid0(VALU_DEP_3) | instskip(SKIP_1) | instid1(VALU_DEP_2)
	v_dual_fmac_f32 v13, v48, v120 :: v_dual_mul_f32 v2, v39, v113
	v_mul_f32_e32 v7, v38, v113
	v_fma_f32 v6, v38, v112, -v2
	s_delay_alu instid0(VALU_DEP_2)
	v_fmac_f32_e32 v7, v39, v112
	ds_load_2addr_b64 v[36:39], v220 offset1:144
	s_clause 0x1
	global_load_b64 v[171:172], v[0:1], off offset:272
	global_load_b128 v[116:119], v[0:1], off offset:256
	s_waitcnt lgkmcnt(0)
	v_mul_f32_e32 v11, v38, v115
	v_mul_f32_e32 v2, v37, v63
	;; [unrolled: 1-line block ×3, first 2 shown]
	s_delay_alu instid0(VALU_DEP_3) | instskip(NEXT) | instid1(VALU_DEP_3)
	v_fmac_f32_e32 v11, v39, v114
	v_fma_f32 v8, v36, v62, -v2
	s_waitcnt vmcnt(0)
	s_delay_alu instid0(VALU_DEP_3) | instskip(SKIP_1) | instid1(VALU_DEP_2)
	v_dual_fmac_f32 v9, v37, v62 :: v_dual_mul_f32 v0, v50, v117
	v_mul_f32_e32 v15, v49, v117
	v_fma_f32 v14, v49, v116, -v0
	s_delay_alu instid0(VALU_DEP_2) | instskip(NEXT) | instid1(VALU_DEP_1)
	v_dual_mul_f32 v2, v39, v115 :: v_dual_fmac_f32 v15, v50, v116
	v_fma_f32 v10, v38, v114, -v2
	v_mul_f32_e32 v2, v48, v121
	s_delay_alu instid0(VALU_DEP_1)
	v_fma_f32 v12, v47, v120, -v2
	ds_load_2addr_b64 v[47:50], v159 offset1:144
	s_waitcnt lgkmcnt(0)
	v_mul_f32_e32 v0, v48, v123
	v_mul_f32_e32 v17, v47, v123
	;; [unrolled: 1-line block ×3, first 2 shown]
	s_delay_alu instid0(VALU_DEP_3) | instskip(NEXT) | instid1(VALU_DEP_3)
	v_fma_f32 v16, v47, v122, -v0
	v_dual_mul_f32 v0, v50, v119 :: v_dual_fmac_f32 v17, v48, v122
	s_delay_alu instid0(VALU_DEP_3) | instskip(NEXT) | instid1(VALU_DEP_2)
	v_fmac_f32_e32 v19, v50, v118
	v_fma_f32 v18, v49, v118, -v0
	ds_load_2addr_b64 v[47:50], v216 offset0:64 offset1:208
	s_waitcnt lgkmcnt(0)
	v_dual_mul_f32 v0, v48, v170 :: v_dual_mul_f32 v23, v49, v172
	v_mul_f32_e32 v21, v47, v170
	s_delay_alu instid0(VALU_DEP_2) | instskip(SKIP_1) | instid1(VALU_DEP_4)
	v_fma_f32 v20, v47, v169, -v0
	v_mul_f32_e32 v0, v50, v172
	v_fmac_f32_e32 v23, v50, v171
	s_delay_alu instid0(VALU_DEP_4) | instskip(SKIP_1) | instid1(VALU_DEP_4)
	v_fmac_f32_e32 v21, v48, v169
	v_mov_b32_e32 v47, v236
	v_fma_f32 v22, v49, v171, -v0
	v_mul_u32_u24_e32 v0, 0xe38f, v46
	v_add_nc_u32_e32 v46, 0x2800, v203
	s_delay_alu instid0(VALU_DEP_2) | instskip(NEXT) | instid1(VALU_DEP_1)
	v_lshrrev_b32_e32 v24, 21, v0
	v_mul_lo_u16 v0, v24, 36
	s_delay_alu instid0(VALU_DEP_1) | instskip(SKIP_2) | instid1(VALU_DEP_2)
	v_sub_nc_u16 v25, v44, v0
	v_mul_u32_u24_e32 v0, 0xe38f, v45
	v_mov_b32_e32 v45, v237
	v_lshrrev_b32_e32 v26, 21, v0
	s_delay_alu instid0(VALU_DEP_1) | instskip(NEXT) | instid1(VALU_DEP_1)
	v_mul_lo_u16 v0, v26, 36
	v_sub_nc_u16 v27, v68, v0
	v_mul_lo_u16 v0, v25, 40
	s_delay_alu instid0(VALU_DEP_2) | instskip(NEXT) | instid1(VALU_DEP_2)
	v_mul_lo_u16 v1, v27, 40
	v_and_b32_e32 v0, 0xffff, v0
	s_delay_alu instid0(VALU_DEP_2) | instskip(NEXT) | instid1(VALU_DEP_2)
	v_and_b32_e32 v2, 0xffff, v1
	v_add_co_u32 v0, s8, s10, v0
	s_delay_alu instid0(VALU_DEP_1) | instskip(NEXT) | instid1(VALU_DEP_3)
	v_add_co_ci_u32_e64 v1, null, s11, 0, s8
	v_add_co_u32 v2, s8, s10, v2
	s_delay_alu instid0(VALU_DEP_1)
	v_add_co_ci_u32_e64 v3, null, s11, 0, s8
	s_clause 0x2
	global_load_b64 v[163:164], v[0:1], off offset:272
	global_load_b128 v[72:75], v[0:1], off offset:240
	global_load_b128 v[181:184], v[0:1], off offset:256
	ds_load_2addr_b64 v[48:51], v218 offset0:96 offset1:240
	ds_load_2addr_b64 v[64:67], v243 offset0:96 offset1:240
	global_load_b128 v[56:59], v[2:3], off offset:240
	s_waitcnt vmcnt(2) lgkmcnt(1)
	v_dual_add_f32 v1, v8, v16 :: v_dual_mul_f32 v0, v49, v73
	v_mul_f32_e32 v29, v48, v73
	s_waitcnt vmcnt(1) lgkmcnt(0)
	v_mul_f32_e32 v37, v64, v182
	s_waitcnt vmcnt(0)
	v_mul_f32_e32 v31, v50, v57
	v_fma_f32 v28, v48, v72, -v0
	v_dual_mul_f32 v0, v51, v57 :: v_dual_fmac_f32 v29, v49, v72
	v_fmac_f32_e32 v37, v65, v181
	s_delay_alu instid0(VALU_DEP_4) | instskip(NEXT) | instid1(VALU_DEP_3)
	v_fmac_f32_e32 v31, v51, v56
	v_fma_f32 v30, v50, v56, -v0
	ds_load_2addr_b64 v[48:51], v236 offset0:32 offset1:176
	s_waitcnt lgkmcnt(0)
	v_mul_f32_e32 v0, v49, v75
	v_mul_f32_e32 v33, v48, v75
	;; [unrolled: 1-line block ×3, first 2 shown]
	s_delay_alu instid0(VALU_DEP_3) | instskip(NEXT) | instid1(VALU_DEP_3)
	v_fma_f32 v32, v48, v74, -v0
	v_dual_mul_f32 v0, v51, v59 :: v_dual_fmac_f32 v33, v49, v74
	s_delay_alu instid0(VALU_DEP_3) | instskip(NEXT) | instid1(VALU_DEP_2)
	v_fmac_f32_e32 v35, v51, v58
	v_fma_f32 v34, v50, v58, -v0
	s_clause 0x1
	global_load_b64 v[160:161], v[2:3], off offset:272
	global_load_b128 v[48:51], v[2:3], off offset:256
	v_mul_f32_e32 v0, v65, v182
	ds_load_2addr_b64 v[76:79], v255 offset0:32 offset1:176
	v_add_f32_e32 v2, v9, v17
	v_add_f32_e32 v3, v5, v13
	v_fma_f32 v36, v64, v181, -v0
	s_waitcnt vmcnt(0)
	v_mul_f32_e32 v0, v67, v49
	v_mul_f32_e32 v39, v66, v49
	s_delay_alu instid0(VALU_DEP_2) | instskip(NEXT) | instid1(VALU_DEP_2)
	v_fma_f32 v38, v66, v48, -v0
	v_fmac_f32_e32 v39, v67, v48
	ds_load_2addr_b64 v[64:67], v237 offset0:32 offset1:176
	s_waitcnt lgkmcnt(0)
	v_mul_f32_e32 v0, v65, v184
	v_mul_f32_e32 v41, v64, v184
	v_mul_f32_e32 v43, v66, v51
	s_delay_alu instid0(VALU_DEP_3) | instskip(SKIP_1) | instid1(VALU_DEP_4)
	v_fma_f32 v40, v64, v183, -v0
	v_mul_f32_e32 v0, v67, v51
	v_fmac_f32_e32 v41, v65, v183
	s_delay_alu instid0(VALU_DEP_4) | instskip(NEXT) | instid1(VALU_DEP_3)
	v_fmac_f32_e32 v43, v67, v50
	v_fma_f32 v42, v66, v50, -v0
	ds_load_2addr_b64 v[64:67], v156 offset0:96 offset1:240
	s_waitcnt lgkmcnt(0)
	v_mul_f32_e32 v0, v65, v164
	v_mul_f32_e32 v70, v64, v164
	;; [unrolled: 1-line block ×3, first 2 shown]
	s_delay_alu instid0(VALU_DEP_3) | instskip(SKIP_1) | instid1(VALU_DEP_4)
	v_fma_f32 v69, v64, v163, -v0
	v_mul_f32_e32 v0, v67, v161
	v_fmac_f32_e32 v70, v65, v163
	s_delay_alu instid0(VALU_DEP_4) | instskip(NEXT) | instid1(VALU_DEP_3)
	v_fmac_f32_e32 v80, v67, v160
	v_fma_f32 v71, v66, v160, -v0
	ds_load_2addr_b64 v[64:67], v203 offset1:144
	v_and_b32_e32 v0, 0xffff, v54
	v_sub_f32_e32 v54, v9, v17
	s_waitcnt lgkmcnt(0)
	s_barrier
	buffer_gl0_inv
	v_mul_u32_u24_e32 v0, 0xd8, v0
	scratch_store_b32 off, v83, off offset:76 ; 4-byte Folded Spill
	v_add_lshl_u32 v44, v0, v55, 3
	v_add_f32_e32 v0, v64, v8
	v_sub_f32_e32 v8, v8, v16
	v_fma_f32 v64, -0.5, v1, v64
	s_delay_alu instid0(VALU_DEP_3) | instskip(SKIP_2) | instid1(VALU_DEP_4)
	v_add_f32_e32 v16, v0, v16
	v_add_f32_e32 v0, v65, v9
	v_fma_f32 v65, -0.5, v2, v65
	v_fmamk_f32 v81, v54, 0x3f5db3d7, v64
	s_delay_alu instid0(VALU_DEP_3) | instskip(SKIP_1) | instid1(VALU_DEP_4)
	v_dual_fmac_f32 v64, 0xbf5db3d7, v54 :: v_dual_add_f32 v9, v0, v17
	v_dual_add_f32 v0, v13, v21 :: v_dual_add_f32 v17, v12, v20
	v_dual_sub_f32 v13, v13, v21 :: v_dual_fmamk_f32 v82, v8, 0xbf5db3d7, v65
	v_fmac_f32_e32 v65, 0x3f5db3d7, v8
	s_delay_alu instid0(VALU_DEP_3) | instskip(SKIP_3) | instid1(VALU_DEP_3)
	v_fmac_f32_e32 v5, -0.5, v0
	v_add_f32_e32 v0, v4, v12
	v_sub_f32_e32 v12, v12, v20
	v_fmac_f32_e32 v4, -0.5, v17
	v_dual_add_f32 v17, v3, v21 :: v_dual_add_f32 v20, v0, v20
	s_delay_alu instid0(VALU_DEP_3) | instskip(NEXT) | instid1(VALU_DEP_3)
	v_fmamk_f32 v0, v12, 0xbf5db3d7, v5
	v_fmamk_f32 v3, v13, 0x3f5db3d7, v4
	v_fmac_f32_e32 v4, 0xbf5db3d7, v13
	v_fmac_f32_e32 v5, 0x3f5db3d7, v12
	v_add_f32_e32 v1, v9, v17
	v_mul_f32_e32 v21, 0x3f5db3d7, v0
	s_delay_alu instid0(VALU_DEP_4) | instskip(NEXT) | instid1(VALU_DEP_2)
	v_dual_mul_f32 v55, 0xbf5db3d7, v3 :: v_dual_mul_f32 v8, -0.5, v4
	v_fmac_f32_e32 v21, 0.5, v3
	s_delay_alu instid0(VALU_DEP_2) | instskip(SKIP_1) | instid1(VALU_DEP_2)
	v_dual_fmac_f32 v55, 0.5, v0 :: v_dual_fmac_f32 v8, 0x3f5db3d7, v5
	v_dual_mul_f32 v5, -0.5, v5 :: v_dual_add_f32 v0, v16, v20
	v_dual_add_f32 v2, v81, v21 :: v_dual_add_f32 v3, v82, v55
	s_delay_alu instid0(VALU_DEP_2)
	v_dual_fmac_f32 v5, 0xbf5db3d7, v4 :: v_dual_sub_f32 v4, v10, v18
	ds_store_2addr_b64 v44, v[0:1], v[2:3] offset1:36
	v_dual_sub_f32 v0, v16, v20 :: v_dual_sub_f32 v1, v9, v17
	v_dual_add_f32 v2, v64, v8 :: v_dual_add_f32 v3, v65, v5
	ds_store_2addr_b64 v44, v[2:3], v[0:1] offset0:72 offset1:108
	v_dual_sub_f32 v0, v81, v21 :: v_dual_sub_f32 v1, v82, v55
	v_dual_sub_f32 v2, v64, v8 :: v_dual_sub_f32 v3, v65, v5
	v_sub_f32_e32 v8, v11, v19
	ds_store_2addr_b64 v44, v[0:1], v[2:3] offset0:144 offset1:180
	v_add_f32_e32 v1, v66, v10
	v_dual_add_f32 v2, v10, v18 :: v_dual_add_f32 v3, v11, v19
	v_add_f32_e32 v10, v14, v22
	v_mad_u16 v0, 0xd8, v52, v53
	s_delay_alu instid0(VALU_DEP_4)
	v_add_f32_e32 v5, v1, v18
	v_add_f32_e32 v1, v67, v11
	v_fmac_f32_e32 v67, -0.5, v3
	v_add_f32_e32 v3, v7, v15
	v_sub_f32_e32 v11, v14, v22
	v_fma_f32 v16, -0.5, v2, v66
	v_add_f32_e32 v9, v1, v19
	v_add_f32_e32 v1, v15, v23
	v_dual_add_f32 v13, v3, v23 :: v_dual_and_b32 v0, 0xffff, v0
	s_delay_alu instid0(VALU_DEP_4) | instskip(SKIP_1) | instid1(VALU_DEP_4)
	v_fmamk_f32 v17, v8, 0x3f5db3d7, v16
	v_fmamk_f32 v18, v4, 0xbf5db3d7, v67
	v_fmac_f32_e32 v7, -0.5, v1
	v_add_f32_e32 v1, v6, v14
	v_fmac_f32_e32 v6, -0.5, v10
	v_dual_sub_f32 v10, v15, v23 :: v_dual_lshlrev_b32 v19, 3, v0
	s_delay_alu instid0(VALU_DEP_3) | instskip(SKIP_1) | instid1(VALU_DEP_3)
	v_dual_fmac_f32 v67, 0x3f5db3d7, v4 :: v_dual_add_f32 v12, v1, v22
	v_fmamk_f32 v1, v11, 0xbf5db3d7, v7
	v_fmamk_f32 v3, v10, 0x3f5db3d7, v6
	v_fmac_f32_e32 v6, 0xbf5db3d7, v10
	s_delay_alu instid0(VALU_DEP_4) | instskip(NEXT) | instid1(VALU_DEP_4)
	v_dual_fmac_f32 v7, 0x3f5db3d7, v11 :: v_dual_add_f32 v0, v5, v12
	v_mul_f32_e32 v14, 0x3f5db3d7, v1
	s_delay_alu instid0(VALU_DEP_3) | instskip(SKIP_2) | instid1(VALU_DEP_3)
	v_dual_mul_f32 v15, 0xbf5db3d7, v3 :: v_dual_mul_f32 v4, -0.5, v6
	v_fmac_f32_e32 v16, 0xbf5db3d7, v8
	v_add_f32_e32 v8, v29, v37
	v_dual_fmac_f32 v14, 0.5, v3 :: v_dual_fmac_f32 v15, 0.5, v1
	s_delay_alu instid0(VALU_DEP_4) | instskip(SKIP_1) | instid1(VALU_DEP_3)
	v_dual_add_f32 v1, v9, v13 :: v_dual_fmac_f32 v4, 0x3f5db3d7, v7
	v_sub_f32_e32 v10, v36, v69
	v_dual_add_f32 v2, v17, v14 :: v_dual_add_f32 v3, v18, v15
	ds_store_2addr_b64 v19, v[0:1], v[2:3] offset1:36
	v_dual_sub_f32 v0, v5, v12 :: v_dual_mul_f32 v5, -0.5, v7
	v_dual_sub_f32 v1, v9, v13 :: v_dual_add_f32 v2, v16, v4
	v_add_f32_e32 v9, v36, v69
	s_delay_alu instid0(VALU_DEP_3) | instskip(NEXT) | instid1(VALU_DEP_1)
	v_dual_fmac_f32 v5, 0xbf5db3d7, v6 :: v_dual_sub_f32 v6, v33, v41
	v_add_f32_e32 v3, v67, v5
	ds_store_2addr_b64 v19, v[2:3], v[0:1] offset0:72 offset1:108
	v_dual_sub_f32 v1, v67, v5 :: v_dual_sub_f32 v0, v16, v4
	v_dual_sub_f32 v2, v17, v14 :: v_dual_sub_f32 v3, v18, v15
	v_sub_f32_e32 v4, v32, v40
	ds_store_2addr_b64 v19, v[2:3], v[0:1] offset0:144 offset1:180
	v_add_f32_e32 v1, v76, v32
	v_dual_add_f32 v2, v32, v40 :: v_dual_add_f32 v3, v33, v41
	v_mad_u16 v0, 0xd8, v24, v25
	s_delay_alu instid0(VALU_DEP_3) | instskip(SKIP_1) | instid1(VALU_DEP_4)
	v_add_f32_e32 v5, v1, v40
	v_add_f32_e32 v1, v77, v33
	v_fma_f32 v14, -0.5, v2, v76
	v_fma_f32 v15, -0.5, v3, v77
	s_delay_alu instid0(VALU_DEP_3) | instskip(NEXT) | instid1(VALU_DEP_3)
	v_dual_add_f32 v7, v1, v41 :: v_dual_and_b32 v0, 0xffff, v0
	v_dual_add_f32 v1, v37, v70 :: v_dual_fmamk_f32 v16, v6, 0x3f5db3d7, v14
	s_delay_alu instid0(VALU_DEP_2) | instskip(SKIP_1) | instid1(VALU_DEP_3)
	v_dual_fmamk_f32 v17, v4, 0xbf5db3d7, v15 :: v_dual_lshlrev_b32 v18, 3, v0
	v_fmac_f32_e32 v15, 0x3f5db3d7, v4
	v_fmac_f32_e32 v29, -0.5, v1
	v_dual_add_f32 v1, v28, v36 :: v_dual_fmac_f32 v28, -0.5, v9
	v_sub_f32_e32 v9, v37, v70
	v_fmac_f32_e32 v14, 0xbf5db3d7, v6
	s_delay_alu instid0(VALU_DEP_3) | instskip(SKIP_1) | instid1(VALU_DEP_4)
	v_dual_sub_f32 v6, v35, v43 :: v_dual_add_f32 v11, v1, v69
	v_fmamk_f32 v1, v10, 0xbf5db3d7, v29
	v_fmamk_f32 v12, v9, 0x3f5db3d7, v28
	v_dual_fmac_f32 v28, 0xbf5db3d7, v9 :: v_dual_sub_f32 v9, v38, v71
	s_delay_alu instid0(VALU_DEP_3) | instskip(SKIP_1) | instid1(VALU_DEP_3)
	v_dual_add_f32 v8, v8, v70 :: v_dual_mul_f32 v13, 0x3f5db3d7, v1
	v_dual_add_f32 v0, v5, v11 :: v_dual_fmac_f32 v29, 0x3f5db3d7, v10
	v_mul_f32_e32 v4, -0.5, v28
	s_delay_alu instid0(VALU_DEP_3) | instskip(SKIP_1) | instid1(VALU_DEP_3)
	v_fmac_f32_e32 v13, 0.5, v12
	v_mul_f32_e32 v12, 0xbf5db3d7, v12
	v_fmac_f32_e32 v4, 0x3f5db3d7, v29
	s_delay_alu instid0(VALU_DEP_3) | instskip(NEXT) | instid1(VALU_DEP_3)
	v_add_f32_e32 v2, v16, v13
	v_dual_fmac_f32 v12, 0.5, v1 :: v_dual_add_f32 v1, v7, v8
	s_delay_alu instid0(VALU_DEP_1) | instskip(SKIP_4) | instid1(VALU_DEP_3)
	v_add_f32_e32 v3, v17, v12
	ds_store_2addr_b64 v18, v[0:1], v[2:3] offset1:36
	v_dual_sub_f32 v0, v5, v11 :: v_dual_mul_f32 v5, -0.5, v29
	v_sub_f32_e32 v1, v7, v8
	v_add_f32_e32 v2, v14, v4
	v_dual_add_f32 v8, v38, v71 :: v_dual_fmac_f32 v5, 0xbf5db3d7, v28
	s_delay_alu instid0(VALU_DEP_1)
	v_add_f32_e32 v3, v15, v5
	ds_store_2addr_b64 v18, v[2:3], v[0:1] offset0:72 offset1:108
	v_dual_sub_f32 v0, v16, v13 :: v_dual_sub_f32 v1, v17, v12
	v_dual_sub_f32 v2, v14, v4 :: v_dual_sub_f32 v3, v15, v5
	v_sub_f32_e32 v4, v34, v42
	ds_store_2addr_b64 v18, v[0:1], v[2:3] offset0:144 offset1:180
	v_add_f32_e32 v1, v78, v34
	v_dual_add_f32 v3, v35, v43 :: v_dual_add_f32 v2, v34, v42
	v_mad_u16 v0, 0xd8, v26, v27
	s_delay_alu instid0(VALU_DEP_3) | instskip(SKIP_1) | instid1(VALU_DEP_4)
	v_add_f32_e32 v5, v1, v42
	v_add_f32_e32 v1, v79, v35
	v_fmac_f32_e32 v79, -0.5, v3
	v_add_f32_e32 v3, v31, v39
	v_fma_f32 v14, -0.5, v2, v78
	s_delay_alu instid0(VALU_DEP_4) | instskip(SKIP_1) | instid1(VALU_DEP_4)
	v_dual_add_f32 v7, v1, v43 :: v_dual_and_b32 v0, 0xffff, v0
	v_add_f32_e32 v1, v39, v80
	v_add_f32_e32 v11, v3, v80
	s_delay_alu instid0(VALU_DEP_4) | instskip(NEXT) | instid1(VALU_DEP_4)
	v_fmamk_f32 v15, v6, 0x3f5db3d7, v14
	v_dual_fmamk_f32 v16, v4, 0xbf5db3d7, v79 :: v_dual_lshlrev_b32 v17, 3, v0
	s_delay_alu instid0(VALU_DEP_4) | instskip(SKIP_4) | instid1(VALU_DEP_4)
	v_fmac_f32_e32 v31, -0.5, v1
	v_dual_add_f32 v1, v30, v38 :: v_dual_fmac_f32 v30, -0.5, v8
	v_sub_f32_e32 v8, v39, v80
	v_fmac_f32_e32 v79, 0x3f5db3d7, v4
	v_fmac_f32_e32 v14, 0xbf5db3d7, v6
	v_add_f32_e32 v10, v1, v71
	v_fmamk_f32 v1, v9, 0xbf5db3d7, v31
	v_fmamk_f32 v3, v8, 0x3f5db3d7, v30
	v_fmac_f32_e32 v30, 0xbf5db3d7, v8
	s_delay_alu instid0(VALU_DEP_4) | instskip(NEXT) | instid1(VALU_DEP_4)
	v_dual_fmac_f32 v31, 0x3f5db3d7, v9 :: v_dual_add_f32 v0, v5, v10
	v_mul_f32_e32 v12, 0x3f5db3d7, v1
	s_delay_alu instid0(VALU_DEP_3) | instskip(SKIP_4) | instid1(VALU_DEP_3)
	v_dual_mul_f32 v13, 0xbf5db3d7, v3 :: v_dual_mul_f32 v4, -0.5, v30
	scratch_store_b32 off, v17, off offset:116 ; 4-byte Folded Spill
	v_dual_fmac_f32 v12, 0.5, v3 :: v_dual_fmac_f32 v13, 0.5, v1
	v_add_f32_e32 v1, v7, v11
	v_fmac_f32_e32 v4, 0x3f5db3d7, v31
	v_dual_add_f32 v2, v15, v12 :: v_dual_add_f32 v3, v16, v13
	ds_store_2addr_b64 v17, v[0:1], v[2:3] offset1:36
	v_dual_sub_f32 v0, v5, v10 :: v_dual_mul_f32 v5, -0.5, v31
	v_dual_sub_f32 v1, v7, v11 :: v_dual_add_f32 v2, v14, v4
	s_delay_alu instid0(VALU_DEP_2) | instskip(NEXT) | instid1(VALU_DEP_1)
	v_fmac_f32_e32 v5, 0xbf5db3d7, v30
	v_add_f32_e32 v3, v79, v5
	ds_store_2addr_b64 v17, v[2:3], v[0:1] offset0:72 offset1:108
	v_dual_sub_f32 v1, v79, v5 :: v_dual_sub_f32 v0, v14, v4
	v_dual_sub_f32 v2, v15, v12 :: v_dual_sub_f32 v3, v16, v13
	s_clause 0x2
	scratch_store_b32 off, v44, off offset:112
	scratch_store_b32 off, v19, off offset:108
	;; [unrolled: 1-line block ×3, first 2 shown]
	ds_store_2addr_b64 v17, v[2:3], v[0:1] offset0:144 offset1:180
	v_add_nc_u32_e32 v0, 0xffffffb8, v83
	s_waitcnt lgkmcnt(0)
	s_waitcnt_vscnt null, 0x0
	s_barrier
	buffer_gl0_inv
	s_clause 0x1
	global_load_b64 v[173:174], v[88:89], off offset:1696
	global_load_b128 v[64:67], v[88:89], off offset:1680
	v_cndmask_b32_e32 v92, v0, v91, vcc_lo
	ds_load_2addr_b64 v[76:79], v218 offset0:96 offset1:240
	v_mul_i32_i24_e32 v0, 24, v92
	v_mul_hi_i32_i24_e32 v1, 24, v92
	s_delay_alu instid0(VALU_DEP_2) | instskip(NEXT) | instid1(VALU_DEP_2)
	v_add_co_u32 v0, vcc_lo, s10, v0
	v_add_co_ci_u32_e32 v1, vcc_lo, s11, v1, vcc_lo
	s_clause 0x1
	global_load_b64 v[175:176], v[0:1], off offset:1696
	global_load_b128 v[52:55], v[0:1], off offset:1680
	v_cmp_lt_u16_e32 vcc_lo, 0x47, v90
	s_waitcnt vmcnt(2) lgkmcnt(0)
	v_mul_f32_e32 v2, v77, v65
	v_mul_f32_e32 v5, v76, v65
	s_delay_alu instid0(VALU_DEP_2) | instskip(SKIP_1) | instid1(VALU_DEP_2)
	v_fma_f32 v4, v76, v64, -v2
	s_waitcnt vmcnt(0)
	v_dual_fmac_f32 v5, v77, v64 :: v_dual_mul_f32 v0, v79, v53
	v_mul_f32_e32 v9, v78, v53
	s_delay_alu instid0(VALU_DEP_2) | instskip(NEXT) | instid1(VALU_DEP_2)
	v_fma_f32 v8, v78, v52, -v0
	v_fmac_f32_e32 v9, v79, v52
	ds_load_2addr_b64 v[76:79], v235 offset0:64 offset1:208
	s_waitcnt lgkmcnt(0)
	v_mul_f32_e32 v0, v77, v67
	v_mul_f32_e32 v7, v76, v67
	v_mul_f32_e32 v11, v78, v55
	s_delay_alu instid0(VALU_DEP_3) | instskip(NEXT) | instid1(VALU_DEP_3)
	v_fma_f32 v6, v76, v66, -v0
	v_dual_mul_f32 v0, v79, v55 :: v_dual_fmac_f32 v7, v77, v66
	s_delay_alu instid0(VALU_DEP_3) | instskip(NEXT) | instid1(VALU_DEP_2)
	v_fmac_f32_e32 v11, v79, v54
	v_fma_f32 v10, v78, v54, -v0
	ds_load_2addr_b64 v[76:79], v237 offset0:32 offset1:176
	s_waitcnt lgkmcnt(0)
	v_mul_f32_e32 v0, v77, v174
	v_mul_f32_e32 v13, v76, v174
	v_mul_f32_e32 v15, v78, v176
	s_delay_alu instid0(VALU_DEP_3) | instskip(NEXT) | instid1(VALU_DEP_3)
	v_fma_f32 v12, v76, v173, -v0
	v_dual_mul_f32 v0, v79, v176 :: v_dual_fmac_f32 v13, v77, v173
	s_delay_alu instid0(VALU_DEP_3) | instskip(NEXT) | instid1(VALU_DEP_2)
	v_fmac_f32_e32 v15, v79, v175
	v_fma_f32 v14, v78, v175, -v0
	v_lshrrev_b16 v0, 3, v68
	s_clause 0x1
	global_load_b64 v[177:178], v[88:89], off offset:3424
	global_load_b128 v[76:79], v[88:89], off offset:3408
	ds_load_2addr_b64 v[80:83], v220 offset1:144
	v_and_b32_e32 v0, 0xffff, v0
	s_delay_alu instid0(VALU_DEP_1) | instskip(NEXT) | instid1(VALU_DEP_1)
	v_mul_u32_u24_e32 v0, 0x12f7, v0
	v_lshrrev_b32_e32 v0, 17, v0
	s_delay_alu instid0(VALU_DEP_1) | instskip(NEXT) | instid1(VALU_DEP_1)
	v_mul_lo_u16 v0, 0xd8, v0
	v_sub_nc_u16 v93, v68, v0
	s_delay_alu instid0(VALU_DEP_1) | instskip(NEXT) | instid1(VALU_DEP_1)
	v_mul_lo_u16 v0, v93, 24
	v_and_b32_e32 v0, 0xffff, v0
	s_delay_alu instid0(VALU_DEP_1) | instskip(NEXT) | instid1(VALU_DEP_1)
	v_add_co_u32 v0, s8, s10, v0
	v_add_co_ci_u32_e64 v1, null, s11, 0, s8
	s_clause 0x1
	global_load_b64 v[179:180], v[0:1], off offset:1696
	global_load_b128 v[68:71], v[0:1], off offset:1680
	s_waitcnt vmcnt(2) lgkmcnt(0)
	v_mul_f32_e32 v2, v81, v77
	v_mul_f32_e32 v17, v80, v77
	s_delay_alu instid0(VALU_DEP_2) | instskip(SKIP_1) | instid1(VALU_DEP_2)
	v_fma_f32 v16, v80, v76, -v2
	s_waitcnt vmcnt(0)
	v_dual_fmac_f32 v17, v81, v76 :: v_dual_mul_f32 v0, v83, v69
	v_mul_f32_e32 v19, v82, v69
	s_delay_alu instid0(VALU_DEP_2) | instskip(NEXT) | instid1(VALU_DEP_2)
	v_fma_f32 v18, v82, v68, -v0
	v_fmac_f32_e32 v19, v83, v68
	ds_load_2addr_b64 v[80:83], v243 offset0:96 offset1:240
	s_waitcnt lgkmcnt(0)
	v_mul_f32_e32 v0, v81, v79
	v_mul_f32_e32 v21, v80, v79
	;; [unrolled: 1-line block ×3, first 2 shown]
	s_delay_alu instid0(VALU_DEP_3) | instskip(NEXT) | instid1(VALU_DEP_3)
	v_fma_f32 v20, v80, v78, -v0
	v_dual_mul_f32 v0, v83, v71 :: v_dual_fmac_f32 v21, v81, v78
	s_delay_alu instid0(VALU_DEP_3) | instskip(NEXT) | instid1(VALU_DEP_2)
	v_fmac_f32_e32 v23, v83, v70
	v_fma_f32 v22, v82, v70, -v0
	ds_load_2addr_b64 v[80:83], v216 offset0:64 offset1:208
	s_waitcnt lgkmcnt(0)
	v_mul_f32_e32 v0, v81, v178
	v_mul_f32_e32 v25, v80, v178
	;; [unrolled: 1-line block ×3, first 2 shown]
	s_delay_alu instid0(VALU_DEP_3) | instskip(NEXT) | instid1(VALU_DEP_3)
	v_fma_f32 v24, v80, v177, -v0
	v_dual_mul_f32 v0, v83, v180 :: v_dual_fmac_f32 v25, v81, v177
	s_delay_alu instid0(VALU_DEP_3) | instskip(NEXT) | instid1(VALU_DEP_2)
	v_fmac_f32_e32 v27, v83, v179
	v_fma_f32 v26, v82, v179, -v0
	v_add_nc_u16 v0, v90, 0x240
	s_delay_alu instid0(VALU_DEP_1) | instskip(NEXT) | instid1(VALU_DEP_1)
	v_lshrrev_b16 v1, 3, v0
	v_and_b32_e32 v1, 0xffff, v1
	s_delay_alu instid0(VALU_DEP_1) | instskip(NEXT) | instid1(VALU_DEP_1)
	v_mul_u32_u24_e32 v1, 0x12f7, v1
	v_lshrrev_b32_e32 v28, 17, v1
	s_delay_alu instid0(VALU_DEP_1) | instskip(NEXT) | instid1(VALU_DEP_1)
	v_mul_lo_u16 v1, 0xd8, v28
	v_sub_nc_u16 v29, v0, v1
	v_add_nc_u16 v0, v90, 0x2d0
	s_delay_alu instid0(VALU_DEP_1) | instskip(NEXT) | instid1(VALU_DEP_1)
	v_lshrrev_b16 v1, 3, v0
	v_and_b32_e32 v1, 0xffff, v1
	s_delay_alu instid0(VALU_DEP_1) | instskip(NEXT) | instid1(VALU_DEP_1)
	v_mul_u32_u24_e32 v1, 0x12f7, v1
	v_lshrrev_b32_e32 v1, 17, v1
	s_delay_alu instid0(VALU_DEP_1) | instskip(NEXT) | instid1(VALU_DEP_1)
	v_mul_lo_u16 v1, 0xd8, v1
	v_sub_nc_u16 v30, v0, v1
	v_mul_lo_u16 v0, v29, 24
	s_delay_alu instid0(VALU_DEP_2) | instskip(NEXT) | instid1(VALU_DEP_2)
	v_mul_lo_u16 v1, v30, 24
	v_and_b32_e32 v0, 0xffff, v0
	s_delay_alu instid0(VALU_DEP_2) | instskip(NEXT) | instid1(VALU_DEP_2)
	v_and_b32_e32 v2, 0xffff, v1
	v_add_co_u32 v0, s8, s10, v0
	s_delay_alu instid0(VALU_DEP_1) | instskip(NEXT) | instid1(VALU_DEP_3)
	v_add_co_ci_u32_e64 v1, null, s11, 0, s8
	v_add_co_u32 v2, s8, s10, v2
	s_delay_alu instid0(VALU_DEP_1)
	v_add_co_ci_u32_e64 v3, null, s11, 0, s8
	s_clause 0x1
	global_load_b64 v[185:186], v[0:1], off offset:1696
	global_load_b128 v[84:87], v[0:1], off offset:1680
	ds_load_2addr_b64 v[94:97], v236 offset0:32 offset1:176
	s_clause 0x1
	global_load_b64 v[187:188], v[2:3], off offset:1696
	global_load_b128 v[80:83], v[2:3], off offset:1680
	v_sub_f32_e32 v1, v4, v12
	s_delay_alu instid0(VALU_DEP_1)
	v_fma_f32 v2, v4, 2.0, -v1
	s_waitcnt vmcnt(2) lgkmcnt(0)
	v_mul_f32_e32 v0, v95, v85
	v_mul_f32_e32 v32, v94, v85
	s_waitcnt vmcnt(0)
	v_mul_f32_e32 v34, v96, v81
	s_delay_alu instid0(VALU_DEP_3) | instskip(SKIP_2) | instid1(VALU_DEP_4)
	v_fma_f32 v31, v94, v84, -v0
	v_mul_f32_e32 v0, v97, v81
	v_fmac_f32_e32 v32, v95, v84
	v_fmac_f32_e32 v34, v97, v80
	s_delay_alu instid0(VALU_DEP_3)
	v_fma_f32 v33, v96, v80, -v0
	ds_load_2addr_b64 v[94:97], v159 offset1:144
	s_waitcnt lgkmcnt(0)
	v_mul_f32_e32 v0, v95, v87
	v_mul_f32_e32 v36, v94, v87
	;; [unrolled: 1-line block ×3, first 2 shown]
	s_delay_alu instid0(VALU_DEP_3) | instskip(SKIP_1) | instid1(VALU_DEP_4)
	v_fma_f32 v35, v94, v86, -v0
	v_mul_f32_e32 v0, v97, v83
	v_fmac_f32_e32 v36, v95, v86
	s_delay_alu instid0(VALU_DEP_4) | instskip(NEXT) | instid1(VALU_DEP_3)
	v_fmac_f32_e32 v38, v97, v82
	v_fma_f32 v37, v96, v82, -v0
	ds_load_2addr_b64 v[94:97], v156 offset0:96 offset1:240
	s_waitcnt lgkmcnt(0)
	v_mul_f32_e32 v0, v95, v186
	v_mul_f32_e32 v40, v94, v186
	;; [unrolled: 1-line block ×3, first 2 shown]
	s_delay_alu instid0(VALU_DEP_3) | instskip(SKIP_1) | instid1(VALU_DEP_4)
	v_fma_f32 v39, v94, v185, -v0
	v_mul_f32_e32 v0, v97, v188
	v_fmac_f32_e32 v40, v95, v185
	s_delay_alu instid0(VALU_DEP_4) | instskip(NEXT) | instid1(VALU_DEP_3)
	v_fmac_f32_e32 v42, v97, v187
	v_fma_f32 v41, v96, v187, -v0
	ds_load_2addr_b64 v[94:97], v203 offset1:144
	v_sub_f32_e32 v0, v5, v13
	ds_load_2addr_b64 v[98:101], v255 offset0:32 offset1:176
	ds_load_2addr_b64 v[102:105], v162 offset0:64 offset1:208
	s_waitcnt lgkmcnt(0)
	s_barrier
	buffer_gl0_inv
	v_fma_f32 v3, v5, 2.0, -v0
	v_dual_sub_f32 v6, v94, v6 :: v_dual_sub_f32 v7, v95, v7
	s_delay_alu instid0(VALU_DEP_1) | instskip(NEXT) | instid1(VALU_DEP_2)
	v_fma_f32 v12, v94, 2.0, -v6
	v_fma_f32 v13, v95, 2.0, -v7
	v_dual_sub_f32 v0, v6, v0 :: v_dual_add_f32 v1, v7, v1
	s_delay_alu instid0(VALU_DEP_2) | instskip(NEXT) | instid1(VALU_DEP_2)
	v_dual_sub_f32 v2, v12, v2 :: v_dual_sub_f32 v3, v13, v3
	v_fma_f32 v4, v6, 2.0, -v0
	s_delay_alu instid0(VALU_DEP_3) | instskip(NEXT) | instid1(VALU_DEP_3)
	v_fma_f32 v5, v7, 2.0, -v1
	v_fma_f32 v6, v12, 2.0, -v2
	s_delay_alu instid0(VALU_DEP_4)
	v_fma_f32 v7, v13, 2.0, -v3
	ds_store_2addr_b64 v203, v[6:7], v[4:5] offset1:216
	v_add_nc_u32_e32 v4, 0xd00, v203
	v_sub_f32_e32 v5, v97, v11
	ds_store_2addr_b64 v4, v[2:3], v[0:1] offset0:16 offset1:232
	v_sub_f32_e32 v4, v96, v10
	v_dual_sub_f32 v1, v8, v14 :: v_dual_sub_f32 v0, v9, v15
	v_fma_f32 v7, v97, 2.0, -v5
	s_delay_alu instid0(VALU_DEP_3) | instskip(NEXT) | instid1(VALU_DEP_3)
	v_fma_f32 v6, v96, 2.0, -v4
	v_fma_f32 v2, v8, 2.0, -v1
	s_delay_alu instid0(VALU_DEP_4) | instskip(SKIP_2) | instid1(VALU_DEP_3)
	v_fma_f32 v3, v9, 2.0, -v0
	v_dual_sub_f32 v0, v4, v0 :: v_dual_add_f32 v1, v5, v1
	v_cndmask_b32_e64 v8, 0, 0x360, vcc_lo
	v_dual_sub_f32 v2, v6, v2 :: v_dual_sub_f32 v3, v7, v3
	s_delay_alu instid0(VALU_DEP_3) | instskip(NEXT) | instid1(VALU_DEP_4)
	v_fma_f32 v4, v4, 2.0, -v0
	v_fma_f32 v5, v5, 2.0, -v1
	s_delay_alu instid0(VALU_DEP_4) | instskip(NEXT) | instid1(VALU_DEP_4)
	v_add_lshl_u32 v8, v92, v8, 3
	v_fma_f32 v6, v6, 2.0, -v2
	v_fma_f32 v7, v7, 2.0, -v3
	ds_store_2addr_b64 v8, v[6:7], v[4:5] offset1:216
	v_add_nc_u32_e32 v4, 0xd00, v8
	scratch_store_b32 off, v8, off offset:120 ; 4-byte Folded Spill
	v_dual_sub_f32 v5, v99, v21 :: v_dual_add_nc_u32 v8, 0x1d00, v203
	scratch_store_b32 off, v4, off offset:124 ; 4-byte Folded Spill
	ds_store_2addr_b64 v4, v[2:3], v[0:1] offset0:16 offset1:232
	v_dual_sub_f32 v1, v16, v24 :: v_dual_sub_f32 v0, v17, v25
	v_sub_f32_e32 v4, v98, v20
	v_fma_f32 v7, v99, 2.0, -v5
	s_delay_alu instid0(VALU_DEP_3) | instskip(NEXT) | instid1(VALU_DEP_4)
	v_fma_f32 v2, v16, 2.0, -v1
	v_fma_f32 v3, v17, 2.0, -v0
	s_delay_alu instid0(VALU_DEP_4) | instskip(SKIP_1) | instid1(VALU_DEP_2)
	v_fma_f32 v6, v98, 2.0, -v4
	v_dual_sub_f32 v0, v4, v0 :: v_dual_add_f32 v1, v5, v1
	v_dual_sub_f32 v3, v7, v3 :: v_dual_sub_f32 v2, v6, v2
	s_delay_alu instid0(VALU_DEP_2) | instskip(NEXT) | instid1(VALU_DEP_3)
	v_fma_f32 v4, v4, 2.0, -v0
	v_fma_f32 v5, v5, 2.0, -v1
	s_delay_alu instid0(VALU_DEP_3) | instskip(NEXT) | instid1(VALU_DEP_4)
	v_fma_f32 v7, v7, 2.0, -v3
	v_fma_f32 v6, v6, 2.0, -v2
	ds_store_2addr_b64 v8, v[6:7], v[4:5] offset0:8 offset1:224
	v_add_nc_u32_e32 v4, 0x2a00, v203
	v_dual_sub_f32 v5, v101, v23 :: v_dual_and_b32 v8, 0xffff, v93
	ds_store_2addr_b64 v4, v[2:3], v[0:1] offset0:24 offset1:240
	v_sub_f32_e32 v4, v100, v22
	v_dual_sub_f32 v1, v18, v26 :: v_dual_sub_f32 v0, v19, v27
	v_fma_f32 v7, v101, 2.0, -v5
	v_lshlrev_b32_e32 v8, 3, v8
	s_delay_alu instid0(VALU_DEP_4) | instskip(NEXT) | instid1(VALU_DEP_4)
	v_fma_f32 v6, v100, 2.0, -v4
	v_fma_f32 v2, v18, 2.0, -v1
	;; [unrolled: 1-line block ×3, first 2 shown]
	v_dual_sub_f32 v0, v4, v0 :: v_dual_add_f32 v1, v5, v1
	s_delay_alu instid0(VALU_DEP_3) | instskip(NEXT) | instid1(VALU_DEP_3)
	v_dual_sub_f32 v2, v6, v2 :: v_dual_add_nc_u32 v9, 0x3600, v8
	v_sub_f32_e32 v3, v7, v3
	s_delay_alu instid0(VALU_DEP_3) | instskip(NEXT) | instid1(VALU_DEP_4)
	v_fma_f32 v4, v4, 2.0, -v0
	v_fma_f32 v5, v5, 2.0, -v1
	s_delay_alu instid0(VALU_DEP_4) | instskip(NEXT) | instid1(VALU_DEP_4)
	v_fma_f32 v6, v6, 2.0, -v2
	v_fma_f32 v7, v7, 2.0, -v3
	ds_store_2addr_b64 v9, v[6:7], v[4:5] offset1:216
	v_add_nc_u32_e32 v4, 0x4300, v8
	v_sub_f32_e32 v5, v103, v36
	v_mad_u16 v8, 0x360, v28, v29
	scratch_store_b32 off, v4, off offset:144 ; 4-byte Folded Spill
	ds_store_2addr_b64 v4, v[2:3], v[0:1] offset0:16 offset1:232
	v_dual_sub_f32 v1, v31, v39 :: v_dual_sub_f32 v0, v32, v40
	v_sub_f32_e32 v4, v102, v35
	v_fma_f32 v7, v103, 2.0, -v5
	v_and_b32_e32 v8, 0xffff, v8
	s_delay_alu instid0(VALU_DEP_4) | instskip(SKIP_3) | instid1(VALU_DEP_3)
	v_fma_f32 v2, v31, 2.0, -v1
	v_fma_f32 v3, v32, 2.0, -v0
	;; [unrolled: 1-line block ×3, first 2 shown]
	v_dual_sub_f32 v0, v4, v0 :: v_dual_add_f32 v1, v5, v1
	v_dual_sub_f32 v3, v7, v3 :: v_dual_lshlrev_b32 v8, 3, v8
	s_delay_alu instid0(VALU_DEP_3) | instskip(NEXT) | instid1(VALU_DEP_3)
	v_sub_f32_e32 v2, v6, v2
	v_fma_f32 v4, v4, 2.0, -v0
	s_delay_alu instid0(VALU_DEP_4) | instskip(NEXT) | instid1(VALU_DEP_4)
	v_fma_f32 v5, v5, 2.0, -v1
	v_fma_f32 v7, v7, 2.0, -v3
	s_delay_alu instid0(VALU_DEP_4)
	v_fma_f32 v6, v6, 2.0, -v2
	ds_store_2addr_b64 v8, v[6:7], v[4:5] offset1:216
	v_add_nc_u32_e32 v4, 0xd00, v8
	s_clause 0x1
	scratch_store_b32 off, v9, off offset:148
	scratch_store_b32 off, v8, off offset:140
	v_sub_f32_e32 v5, v105, v38
	v_and_b32_e32 v8, 0xffff, v30
	scratch_store_b32 off, v4, off offset:136 ; 4-byte Folded Spill
	ds_store_2addr_b64 v4, v[2:3], v[0:1] offset0:16 offset1:232
	v_sub_f32_e32 v4, v104, v37
	v_dual_sub_f32 v1, v33, v41 :: v_dual_sub_f32 v0, v34, v42
	v_fma_f32 v7, v105, 2.0, -v5
	v_lshlrev_b32_e32 v8, 3, v8
	s_delay_alu instid0(VALU_DEP_4) | instskip(NEXT) | instid1(VALU_DEP_4)
	v_fma_f32 v6, v104, 2.0, -v4
	v_fma_f32 v2, v33, 2.0, -v1
	;; [unrolled: 1-line block ×3, first 2 shown]
	v_dual_sub_f32 v0, v4, v0 :: v_dual_add_f32 v1, v5, v1
	s_delay_alu instid0(VALU_DEP_3) | instskip(NEXT) | instid1(VALU_DEP_3)
	v_dual_sub_f32 v2, v6, v2 :: v_dual_add_nc_u32 v9, 0x5000, v8
	v_sub_f32_e32 v3, v7, v3
	s_delay_alu instid0(VALU_DEP_3) | instskip(NEXT) | instid1(VALU_DEP_4)
	v_fma_f32 v4, v4, 2.0, -v0
	v_fma_f32 v5, v5, 2.0, -v1
	s_delay_alu instid0(VALU_DEP_4) | instskip(NEXT) | instid1(VALU_DEP_4)
	v_fma_f32 v6, v6, 2.0, -v2
	v_fma_f32 v7, v7, 2.0, -v3
	ds_store_2addr_b64 v9, v[6:7], v[4:5] offset0:32 offset1:248
	v_add_nc_u32_e32 v4, 0x5e00, v8
	s_clause 0x1
	scratch_store_b32 off, v9, off offset:132
	scratch_store_b32 off, v4, off offset:128
	ds_store_2addr_b64 v4, v[2:3], v[0:1] offset0:16 offset1:232
	v_mad_u64_u32 v[4:5], null, v91, 24, s[10:11]
	v_add_co_u32 v0, vcc_lo, 0x1000, v88
	v_add_co_ci_u32_e32 v1, vcc_lo, 0, v89, vcc_lo
	v_add_co_u32 v2, vcc_lo, 0x1ad0, v88
	v_add_co_ci_u32_e32 v3, vcc_lo, 0, v89, vcc_lo
	;; [unrolled: 2-line block ×4, first 2 shown]
	s_waitcnt lgkmcnt(0)
	s_waitcnt_vscnt null, 0x0
	s_barrier
	buffer_gl0_inv
	s_clause 0x3
	global_load_b64 v[191:192], v[2:3], off offset:16
	global_load_b64 v[189:190], v[8:9], off offset:16
	global_load_b128 v[92:95], v[0:1], off offset:2768
	global_load_b128 v[88:91], v[6:7], off offset:2768
	ds_load_2addr_b64 v[96:99], v218 offset0:96 offset1:240
	s_waitcnt vmcnt(1) lgkmcnt(0)
	v_mul_f32_e32 v0, v97, v93
	v_mul_f32_e32 v11, v96, v93
	s_waitcnt vmcnt(0)
	v_mul_f32_e32 v13, v98, v89
	s_delay_alu instid0(VALU_DEP_3) | instskip(NEXT) | instid1(VALU_DEP_3)
	v_fma_f32 v10, v96, v92, -v0
	v_dual_mul_f32 v0, v99, v89 :: v_dual_fmac_f32 v11, v97, v92
	s_delay_alu instid0(VALU_DEP_3) | instskip(NEXT) | instid1(VALU_DEP_2)
	v_fmac_f32_e32 v13, v99, v88
	v_fma_f32 v12, v98, v88, -v0
	ds_load_2addr_b64 v[96:99], v235 offset0:64 offset1:208
	s_waitcnt lgkmcnt(0)
	v_mul_f32_e32 v0, v97, v95
	v_mul_f32_e32 v15, v96, v95
	;; [unrolled: 1-line block ×3, first 2 shown]
	s_delay_alu instid0(VALU_DEP_3) | instskip(NEXT) | instid1(VALU_DEP_3)
	v_fma_f32 v14, v96, v94, -v0
	v_dual_mul_f32 v0, v99, v91 :: v_dual_fmac_f32 v15, v97, v94
	s_delay_alu instid0(VALU_DEP_3) | instskip(NEXT) | instid1(VALU_DEP_2)
	v_fmac_f32_e32 v17, v99, v90
	v_fma_f32 v16, v98, v90, -v0
	ds_load_2addr_b64 v[96:99], v237 offset0:32 offset1:176
	s_waitcnt lgkmcnt(0)
	v_mul_f32_e32 v0, v97, v192
	v_mul_f32_e32 v19, v96, v192
	;; [unrolled: 1-line block ×3, first 2 shown]
	s_delay_alu instid0(VALU_DEP_3) | instskip(NEXT) | instid1(VALU_DEP_3)
	v_fma_f32 v18, v96, v191, -v0
	v_dual_mul_f32 v0, v99, v190 :: v_dual_fmac_f32 v19, v97, v191
	s_delay_alu instid0(VALU_DEP_3) | instskip(NEXT) | instid1(VALU_DEP_2)
	v_fmac_f32_e32 v21, v99, v189
	v_fma_f32 v20, v98, v189, -v0
	v_add_co_u32 v0, vcc_lo, 0x2000, v4
	v_add_co_ci_u32_e32 v1, vcc_lo, 0, v5, vcc_lo
	v_add_co_u32 v2, vcc_lo, 0x2850, v4
	v_add_co_ci_u32_e32 v3, vcc_lo, 0, v5, vcc_lo
	;; [unrolled: 2-line block ×4, first 2 shown]
	s_clause 0x2
	global_load_b64 v[195:196], v[2:3], off offset:16
	global_load_b64 v[193:194], v[6:7], off offset:16
	global_load_b128 v[100:103], v[0:1], off offset:2128
	ds_load_2addr_b64 v[104:107], v220 offset1:144
	global_load_b128 v[96:99], v[8:9], off offset:1488
	s_waitcnt vmcnt(1) lgkmcnt(0)
	v_mul_f32_e32 v0, v105, v101
	v_mul_f32_e32 v23, v104, v101
	s_waitcnt vmcnt(0)
	v_mul_f32_e32 v9, v106, v97
	s_delay_alu instid0(VALU_DEP_3) | instskip(NEXT) | instid1(VALU_DEP_3)
	v_fma_f32 v22, v104, v100, -v0
	v_dual_mul_f32 v0, v107, v97 :: v_dual_fmac_f32 v23, v105, v100
	s_delay_alu instid0(VALU_DEP_3) | instskip(NEXT) | instid1(VALU_DEP_2)
	v_fmac_f32_e32 v9, v107, v96
	v_fma_f32 v8, v106, v96, -v0
	ds_load_2addr_b64 v[104:107], v243 offset0:96 offset1:240
	s_waitcnt lgkmcnt(0)
	v_mul_f32_e32 v0, v105, v103
	v_mul_f32_e32 v25, v104, v103
	;; [unrolled: 1-line block ×3, first 2 shown]
	s_delay_alu instid0(VALU_DEP_3) | instskip(NEXT) | instid1(VALU_DEP_3)
	v_fma_f32 v24, v104, v102, -v0
	v_dual_mul_f32 v0, v107, v99 :: v_dual_fmac_f32 v25, v105, v102
	s_delay_alu instid0(VALU_DEP_3) | instskip(NEXT) | instid1(VALU_DEP_2)
	v_fmac_f32_e32 v27, v107, v98
	v_fma_f32 v26, v106, v98, -v0
	ds_load_2addr_b64 v[104:107], v216 offset0:64 offset1:208
	s_waitcnt lgkmcnt(0)
	v_mul_f32_e32 v0, v105, v196
	v_mul_f32_e32 v29, v104, v196
	v_mul_f32_e32 v31, v106, v194
	s_delay_alu instid0(VALU_DEP_3) | instskip(NEXT) | instid1(VALU_DEP_3)
	v_fma_f32 v28, v104, v195, -v0
	v_dual_mul_f32 v0, v107, v194 :: v_dual_fmac_f32 v29, v105, v195
	s_delay_alu instid0(VALU_DEP_3) | instskip(NEXT) | instid1(VALU_DEP_2)
	v_fmac_f32_e32 v31, v107, v193
	v_fma_f32 v30, v106, v193, -v0
	v_add_co_u32 v0, vcc_lo, 0x4000, v4
	v_add_co_ci_u32_e32 v1, vcc_lo, 0, v5, vcc_lo
	v_add_co_u32 v2, vcc_lo, 0x4350, v4
	v_add_co_ci_u32_e32 v3, vcc_lo, 0, v5, vcc_lo
	;; [unrolled: 2-line block ×4, first 2 shown]
	s_clause 0x2
	global_load_b64 v[199:200], v[2:3], off offset:16
	global_load_b64 v[197:198], v[6:7], off offset:16
	global_load_b128 v[108:111], v[0:1], off offset:848
	ds_load_2addr_b64 v[244:247], v236 offset0:32 offset1:176
	global_load_b128 v[104:107], v[4:5], off offset:208
	v_sub_f32_e32 v4, v11, v19
	s_waitcnt vmcnt(1) lgkmcnt(0)
	v_mul_f32_e32 v0, v245, v109
	v_mul_f32_e32 v33, v244, v109
	s_waitcnt vmcnt(0)
	v_mul_f32_e32 v35, v246, v105
	s_delay_alu instid0(VALU_DEP_3) | instskip(NEXT) | instid1(VALU_DEP_3)
	v_fma_f32 v32, v244, v108, -v0
	v_dual_mul_f32 v0, v247, v105 :: v_dual_fmac_f32 v33, v245, v108
	s_delay_alu instid0(VALU_DEP_3) | instskip(NEXT) | instid1(VALU_DEP_2)
	v_fmac_f32_e32 v35, v247, v104
	v_fma_f32 v34, v246, v104, -v0
	ds_load_2addr_b64 v[244:247], v159 offset1:144
	s_waitcnt lgkmcnt(0)
	v_mul_f32_e32 v0, v245, v111
	v_mul_f32_e32 v37, v244, v111
	;; [unrolled: 1-line block ×3, first 2 shown]
	s_delay_alu instid0(VALU_DEP_3) | instskip(NEXT) | instid1(VALU_DEP_3)
	v_fma_f32 v36, v244, v110, -v0
	v_dual_mul_f32 v0, v247, v107 :: v_dual_fmac_f32 v37, v245, v110
	s_delay_alu instid0(VALU_DEP_3) | instskip(NEXT) | instid1(VALU_DEP_2)
	v_fmac_f32_e32 v39, v247, v106
	v_fma_f32 v38, v246, v106, -v0
	ds_load_2addr_b64 v[244:247], v156 offset0:96 offset1:240
	v_add_nc_u32_e32 v156, 0x1e00, v203
	s_waitcnt lgkmcnt(0)
	v_mul_f32_e32 v0, v245, v200
	v_mul_f32_e32 v41, v244, v200
	;; [unrolled: 1-line block ×3, first 2 shown]
	s_delay_alu instid0(VALU_DEP_3) | instskip(NEXT) | instid1(VALU_DEP_3)
	v_fma_f32 v40, v244, v199, -v0
	v_dual_mul_f32 v0, v247, v198 :: v_dual_fmac_f32 v41, v245, v199
	s_delay_alu instid0(VALU_DEP_3) | instskip(NEXT) | instid1(VALU_DEP_2)
	v_fmac_f32_e32 v43, v247, v197
	v_fma_f32 v42, v246, v197, -v0
	ds_load_2addr_b64 v[244:247], v203 offset1:144
	v_sub_f32_e32 v0, v10, v18
	s_delay_alu instid0(VALU_DEP_1)
	v_fma_f32 v5, v10, 2.0, -v0
	v_fma_f32 v10, v11, 2.0, -v4
	s_waitcnt lgkmcnt(0)
	v_dual_sub_f32 v11, v13, v21 :: v_dual_sub_f32 v2, v244, v14
	v_dual_sub_f32 v3, v245, v15 :: v_dual_sub_f32 v6, v246, v16
	v_sub_f32_e32 v7, v247, v17
	s_delay_alu instid0(VALU_DEP_3) | instskip(NEXT) | instid1(VALU_DEP_3)
	v_fma_f32 v14, v244, 2.0, -v2
	v_fma_f32 v15, v245, 2.0, -v3
	v_add_f32_e32 v1, v3, v0
	v_sub_f32_e32 v0, v2, v4
	v_fma_f32 v16, v246, 2.0, -v6
	s_delay_alu instid0(VALU_DEP_4) | instskip(NEXT) | instid1(VALU_DEP_4)
	v_dual_sub_f32 v4, v14, v5 :: v_dual_sub_f32 v5, v15, v10
	v_fma_f32 v3, v3, 2.0, -v1
	s_delay_alu instid0(VALU_DEP_4)
	v_fma_f32 v2, v2, 2.0, -v0
	v_sub_f32_e32 v10, v12, v20
	v_fma_f32 v17, v247, 2.0, -v7
	ds_load_2addr_b64 v[245:248], v255 offset0:32 offset1:176
	ds_load_2addr_b64 v[249:252], v162 offset0:64 offset1:208
	ds_store_b64 v203, v[2:3] offset:6912
	ds_store_b64 v203, v[0:1] offset:20736
	v_fma_f32 v2, v12, 2.0, -v10
	v_fma_f32 v3, v13, 2.0, -v11
	;; [unrolled: 1-line block ×4, first 2 shown]
	ds_store_b64 v203, v[4:5] offset:13824
	v_dual_sub_f32 v2, v16, v2 :: v_dual_sub_f32 v3, v17, v3
	s_delay_alu instid0(VALU_DEP_1) | instskip(NEXT) | instid1(VALU_DEP_2)
	v_fma_f32 v4, v16, 2.0, -v2
	v_fma_f32 v5, v17, 2.0, -v3
	ds_store_2addr_b64 v203, v[0:1], v[4:5] offset1:144
	v_dual_sub_f32 v0, v6, v11 :: v_dual_add_f32 v1, v7, v10
	ds_store_b64 v203, v[2:3] offset:14976
	v_dual_sub_f32 v10, v23, v29 :: v_dual_sub_f32 v11, v22, v28
	v_fma_f32 v2, v6, 2.0, -v0
	v_fma_f32 v3, v7, 2.0, -v1
	s_waitcnt lgkmcnt(6)
	v_dual_sub_f32 v6, v245, v24 :: v_dual_sub_f32 v7, v246, v25
	ds_store_b64 v203, v[0:1] offset:21888
	v_dual_sub_f32 v12, v247, v26 :: v_dual_sub_f32 v13, v248, v27
	v_dual_sub_f32 v0, v6, v10 :: v_dual_add_f32 v1, v7, v11
	s_delay_alu instid0(VALU_DEP_2) | instskip(NEXT) | instid1(VALU_DEP_3)
	v_fma_f32 v14, v247, 2.0, -v12
	v_fma_f32 v15, v248, 2.0, -v13
	s_delay_alu instid0(VALU_DEP_3) | instskip(NEXT) | instid1(VALU_DEP_4)
	v_fma_f32 v4, v6, 2.0, -v0
	v_fma_f32 v5, v7, 2.0, -v1
	;; [unrolled: 1-line block ×4, first 2 shown]
	ds_store_2addr_b64 v156, v[2:3], v[4:5] offset0:48 offset1:192
	v_fma_f32 v2, v22, 2.0, -v11
	v_fma_f32 v3, v23, 2.0, -v10
	v_dual_sub_f32 v10, v8, v30 :: v_dual_sub_f32 v11, v9, v31
	s_delay_alu instid0(VALU_DEP_2) | instskip(NEXT) | instid1(VALU_DEP_2)
	v_dual_sub_f32 v2, v6, v2 :: v_dual_sub_f32 v3, v7, v3
	v_fma_f32 v4, v8, 2.0, -v10
	s_delay_alu instid0(VALU_DEP_3) | instskip(NEXT) | instid1(VALU_DEP_3)
	v_fma_f32 v5, v9, 2.0, -v11
	v_fma_f32 v6, v6, 2.0, -v2
	s_delay_alu instid0(VALU_DEP_4) | instskip(NEXT) | instid1(VALU_DEP_3)
	v_fma_f32 v7, v7, 2.0, -v3
	v_dual_sub_f32 v4, v14, v4 :: v_dual_sub_f32 v5, v15, v5
	s_delay_alu instid0(VALU_DEP_1) | instskip(NEXT) | instid1(VALU_DEP_2)
	v_fma_f32 v8, v14, 2.0, -v4
	v_fma_f32 v9, v15, 2.0, -v5
	ds_store_2addr_b64 v255, v[6:7], v[8:9] offset0:32 offset1:176
	ds_store_2addr_b64 v243, v[2:3], v[4:5] offset0:96 offset1:240
	v_dual_sub_f32 v2, v12, v11 :: v_dual_add_f32 v3, v13, v10
	s_waitcnt lgkmcnt(9)
	v_dual_sub_f32 v6, v249, v36 :: v_dual_sub_f32 v7, v250, v37
	v_dual_sub_f32 v8, v33, v41 :: v_dual_sub_f32 v9, v32, v40
	ds_store_2addr_b64 v216, v[0:1], v[2:3] offset0:64 offset1:208
	v_fma_f32 v0, v12, 2.0, -v2
	v_fma_f32 v1, v13, 2.0, -v3
	v_dual_sub_f32 v2, v6, v8 :: v_dual_add_f32 v3, v7, v9
	v_dual_sub_f32 v10, v251, v38 :: v_dual_sub_f32 v11, v252, v39
	v_sub_f32_e32 v14, v34, v42
	s_delay_alu instid0(VALU_DEP_3) | instskip(NEXT) | instid1(VALU_DEP_4)
	v_fma_f32 v4, v6, 2.0, -v2
	v_fma_f32 v5, v7, 2.0, -v3
	v_sub_f32_e32 v15, v35, v43
	v_fma_f32 v6, v249, 2.0, -v6
	v_fma_f32 v7, v250, 2.0, -v7
	;; [unrolled: 1-line block ×3, first 2 shown]
	ds_store_2addr_b64 v46, v[0:1], v[4:5] offset0:16 offset1:160
	v_fma_f32 v13, v252, 2.0, -v11
	v_fma_f32 v0, v32, 2.0, -v9
	;; [unrolled: 1-line block ×5, first 2 shown]
	v_add_co_u32 v40, s8, s2, v203
	s_delay_alu instid0(VALU_DEP_4) | instskip(NEXT) | instid1(VALU_DEP_3)
	v_dual_sub_f32 v0, v6, v0 :: v_dual_sub_f32 v1, v7, v1
	v_dual_sub_f32 v4, v12, v4 :: v_dual_sub_f32 v5, v13, v5
	v_add_co_ci_u32_e64 v41, null, s3, 0, s8
	s_delay_alu instid0(VALU_DEP_3) | instskip(NEXT) | instid1(VALU_DEP_4)
	v_fma_f32 v6, v6, 2.0, -v0
	v_fma_f32 v7, v7, 2.0, -v1
	s_delay_alu instid0(VALU_DEP_4)
	v_fma_f32 v8, v12, 2.0, -v4
	v_fma_f32 v9, v13, 2.0, -v5
	ds_store_2addr_b64 v162, v[6:7], v[8:9] offset0:64 offset1:208
	ds_store_2addr_b64 v159, v[0:1], v[4:5] offset1:144
	v_dual_sub_f32 v0, v10, v15 :: v_dual_add_f32 v1, v11, v14
	ds_store_2addr_b64 v158, v[2:3], v[0:1] offset0:96 offset1:240
	v_fma_f32 v0, v10, 2.0, -v0
	v_fma_f32 v1, v11, 2.0, -v1
	ds_store_b64 v203, v[0:1] offset:12672
	s_waitcnt lgkmcnt(0)
	s_barrier
	buffer_gl0_inv
	s_clause 0x3
	global_load_b64 v[0:1], v203, s[2:3]
	global_load_b64 v[2:3], v203, s[2:3] offset:1152
	global_load_b64 v[4:5], v203, s[2:3] offset:2304
	;; [unrolled: 1-line block ×3, first 2 shown]
	ds_load_2addr_b64 v[245:248], v203 offset1:144
	s_waitcnt vmcnt(3) lgkmcnt(0)
	v_mul_f32_e32 v8, v246, v1
	v_mul_f32_e32 v9, v245, v1
	s_waitcnt vmcnt(2)
	v_mul_f32_e32 v1, v247, v3
	s_delay_alu instid0(VALU_DEP_3) | instskip(NEXT) | instid1(VALU_DEP_3)
	v_fma_f32 v8, v245, v0, -v8
	v_dual_fmac_f32 v9, v246, v0 :: v_dual_mul_f32 v0, v248, v3
	s_delay_alu instid0(VALU_DEP_3)
	v_fmac_f32_e32 v1, v248, v2
	ds_store_b64 v203, v[8:9]
	v_fma_f32 v0, v247, v2, -v0
	v_add_co_u32 v2, vcc_lo, 0x1000, v40
	v_add_co_ci_u32_e32 v3, vcc_lo, 0, v41, vcc_lo
	s_clause 0x3
	global_load_b64 v[8:9], v[2:3], off offset:1664
	global_load_b64 v[10:11], v[2:3], off offset:2816
	global_load_b64 v[12:13], v238, s[2:3]
	global_load_b64 v[14:15], v[2:3], off offset:512
	ds_load_2addr_b64 v[245:248], v162 offset0:64 offset1:208
	s_mul_i32 s2, s5, 0x1200
	s_mul_hi_u32 s3, s4, 0x1200
	s_delay_alu instid0(SALU_CYCLE_1)
	s_add_i32 s2, s3, s2
	s_mul_i32 s3, s4, 0x1200
	s_waitcnt vmcnt(0) lgkmcnt(0)
	v_mul_f32_e32 v16, v246, v15
	v_mul_f32_e32 v17, v245, v15
	;; [unrolled: 1-line block ×3, first 2 shown]
	s_delay_alu instid0(VALU_DEP_3) | instskip(NEXT) | instid1(VALU_DEP_3)
	v_fma_f32 v16, v245, v14, -v16
	v_dual_fmac_f32 v17, v246, v14 :: v_dual_mul_f32 v14, v248, v9
	s_delay_alu instid0(VALU_DEP_3) | instskip(NEXT) | instid1(VALU_DEP_2)
	v_fmac_f32_e32 v15, v248, v8
	v_fma_f32 v14, v247, v8, -v14
	v_add_co_u32 v8, vcc_lo, 0x2000, v40
	v_add_co_ci_u32_e32 v9, vcc_lo, 0, v41, vcc_lo
	s_clause 0x3
	global_load_b64 v[18:19], v[8:9], off offset:1024
	global_load_b64 v[20:21], v[8:9], off offset:2176
	;; [unrolled: 1-line block ×4, first 2 shown]
	ds_load_2addr_b64 v[245:248], v220 offset1:144
	s_waitcnt vmcnt(3) lgkmcnt(0)
	v_mul_f32_e32 v22, v246, v19
	v_mul_f32_e32 v23, v245, v19
	s_waitcnt vmcnt(2)
	v_mul_f32_e32 v19, v247, v21
	s_delay_alu instid0(VALU_DEP_3) | instskip(NEXT) | instid1(VALU_DEP_3)
	v_fma_f32 v22, v245, v18, -v22
	v_dual_fmac_f32 v23, v246, v18 :: v_dual_mul_f32 v18, v248, v21
	s_delay_alu instid0(VALU_DEP_3) | instskip(NEXT) | instid1(VALU_DEP_2)
	v_fmac_f32_e32 v19, v248, v20
	v_fma_f32 v18, v247, v20, -v18
	v_add_co_u32 v20, vcc_lo, 0x3000, v40
	v_add_co_ci_u32_e32 v21, vcc_lo, 0, v41, vcc_lo
	s_clause 0x3
	global_load_b64 v[24:25], v[20:21], off offset:1536
	global_load_b64 v[26:27], v[20:21], off offset:2688
	;; [unrolled: 1-line block ×4, first 2 shown]
	ds_load_2addr_b64 v[245:248], v235 offset0:64 offset1:208
	s_waitcnt vmcnt(3) lgkmcnt(0)
	v_mul_f32_e32 v30, v246, v25
	v_mul_f32_e32 v31, v245, v25
	s_waitcnt vmcnt(2)
	v_mul_f32_e32 v25, v247, v27
	s_delay_alu instid0(VALU_DEP_3) | instskip(NEXT) | instid1(VALU_DEP_3)
	v_fma_f32 v30, v245, v24, -v30
	v_dual_fmac_f32 v31, v246, v24 :: v_dual_mul_f32 v24, v248, v27
	s_delay_alu instid0(VALU_DEP_3) | instskip(NEXT) | instid1(VALU_DEP_2)
	v_fmac_f32_e32 v25, v248, v26
	v_fma_f32 v24, v247, v26, -v24
	ds_load_2addr_b64 v[245:248], v159 offset1:144
	s_waitcnt lgkmcnt(0)
	v_mul_f32_e32 v26, v246, v13
	v_mul_f32_e32 v27, v245, v13
	s_delay_alu instid0(VALU_DEP_2) | instskip(NEXT) | instid1(VALU_DEP_2)
	v_fma_f32 v26, v245, v12, -v26
	v_fmac_f32_e32 v27, v246, v12
	v_add_co_u32 v12, vcc_lo, 0x6000, v40
	v_add_co_ci_u32_e32 v13, vcc_lo, 0, v41, vcc_lo
	v_add_co_u32 v32, vcc_lo, 0x4000, v40
	v_add_co_ci_u32_e32 v33, vcc_lo, 0, v41, vcc_lo
	s_clause 0x3
	global_load_b64 v[34:35], v[12:13], off offset:768
	global_load_b64 v[12:13], v[12:13], off offset:1920
	;; [unrolled: 1-line block ×4, first 2 shown]
	s_waitcnt vmcnt(1)
	v_mul_f32_e32 v38, v248, v37
	v_mul_f32_e32 v39, v247, v37
	s_delay_alu instid0(VALU_DEP_2) | instskip(NEXT) | instid1(VALU_DEP_2)
	v_fma_f32 v38, v247, v36, -v38
	v_fmac_f32_e32 v39, v248, v36
	v_add_co_u32 v36, vcc_lo, 0x5000, v40
	v_add_co_ci_u32_e32 v37, vcc_lo, 0, v41, vcc_lo
	s_clause 0x2
	global_load_b64 v[40:41], v[36:37], off offset:2560
	global_load_b64 v[42:43], v[36:37], off offset:3712
	;; [unrolled: 1-line block ×3, first 2 shown]
	ds_load_2addr_b64 v[245:248], v216 offset0:64 offset1:208
	s_waitcnt vmcnt(2) lgkmcnt(0)
	v_mul_f32_e32 v238, v246, v41
	s_waitcnt vmcnt(1)
	v_dual_mul_f32 v252, v245, v41 :: v_dual_mul_f32 v41, v247, v43
	s_delay_alu instid0(VALU_DEP_2) | instskip(NEXT) | instid1(VALU_DEP_2)
	v_fma_f32 v251, v245, v40, -v238
	v_fmac_f32_e32 v252, v246, v40
	v_mul_f32_e32 v40, v248, v43
	s_delay_alu instid0(VALU_DEP_4) | instskip(NEXT) | instid1(VALU_DEP_2)
	v_fmac_f32_e32 v41, v248, v42
	v_fma_f32 v40, v247, v42, -v40
	ds_load_2addr_b64 v[245:248], v255 offset0:32 offset1:176
	s_waitcnt lgkmcnt(0)
	v_mul_f32_e32 v42, v246, v5
	v_mul_f32_e32 v43, v245, v5
	v_mul_f32_e32 v5, v247, v7
	s_delay_alu instid0(VALU_DEP_3) | instskip(NEXT) | instid1(VALU_DEP_3)
	v_fma_f32 v42, v245, v4, -v42
	v_dual_fmac_f32 v43, v246, v4 :: v_dual_mul_f32 v4, v248, v7
	s_delay_alu instid0(VALU_DEP_3) | instskip(NEXT) | instid1(VALU_DEP_2)
	v_fmac_f32_e32 v5, v248, v6
	v_fma_f32 v4, v247, v6, -v4
	ds_load_2addr_b64 v[245:248], v218 offset0:96 offset1:240
	s_waitcnt lgkmcnt(0)
	v_mul_f32_e32 v6, v246, v11
	v_mul_f32_e32 v7, v245, v11
	v_mul_f32_e32 v11, v247, v3
	s_delay_alu instid0(VALU_DEP_3) | instskip(NEXT) | instid1(VALU_DEP_3)
	v_fma_f32 v6, v245, v10, -v6
	v_dual_fmac_f32 v7, v246, v10 :: v_dual_mul_f32 v10, v248, v3
	s_delay_alu instid0(VALU_DEP_3) | instskip(NEXT) | instid1(VALU_DEP_2)
	v_fmac_f32_e32 v11, v248, v2
	v_fma_f32 v10, v247, v2, -v10
	ds_load_2addr_b64 v[245:248], v236 offset0:32 offset1:176
	s_waitcnt lgkmcnt(0)
	v_mul_f32_e32 v2, v246, v9
	v_mul_f32_e32 v3, v245, v9
	v_mul_f32_e32 v9, v247, v21
	s_delay_alu instid0(VALU_DEP_3) | instskip(NEXT) | instid1(VALU_DEP_3)
	v_fma_f32 v2, v245, v8, -v2
	v_dual_fmac_f32 v3, v246, v8 :: v_dual_mul_f32 v8, v248, v21
	s_delay_alu instid0(VALU_DEP_3) | instskip(NEXT) | instid1(VALU_DEP_2)
	v_fmac_f32_e32 v9, v248, v20
	v_fma_f32 v8, v247, v20, -v8
	ds_load_2addr_b64 v[245:248], v243 offset0:96 offset1:240
	s_waitcnt lgkmcnt(0)
	v_mul_f32_e32 v20, v246, v29
	v_mul_f32_e32 v21, v245, v29
	v_mul_f32_e32 v29, v247, v33
	s_delay_alu instid0(VALU_DEP_3) | instskip(NEXT) | instid1(VALU_DEP_3)
	v_fma_f32 v20, v245, v28, -v20
	v_dual_fmac_f32 v21, v246, v28 :: v_dual_mul_f32 v28, v248, v33
	s_delay_alu instid0(VALU_DEP_3) | instskip(NEXT) | instid1(VALU_DEP_2)
	v_fmac_f32_e32 v29, v248, v32
	v_fma_f32 v28, v247, v32, -v28
	global_load_b64 v[32:33], v[36:37], off offset:256
	ds_load_2addr_b64 v[245:248], v237 offset0:32 offset1:176
	s_waitcnt vmcnt(0) lgkmcnt(0)
	v_mul_f32_e32 v36, v246, v33
	v_mul_f32_e32 v37, v245, v33
	v_dual_mul_f32 v33, v247, v250 :: v_dual_mov_b32 v244, v158
	s_delay_alu instid0(VALU_DEP_3) | instskip(NEXT) | instid1(VALU_DEP_3)
	v_fma_f32 v36, v245, v32, -v36
	v_fmac_f32_e32 v37, v246, v32
	s_delay_alu instid0(VALU_DEP_3) | instskip(SKIP_1) | instid1(VALU_DEP_1)
	v_fmac_f32_e32 v33, v248, v249
	v_mul_f32_e32 v32, v248, v250
	v_fma_f32 v32, v247, v249, -v32
	ds_load_2addr_b64 v[245:248], v244 offset0:96 offset1:240
	s_waitcnt lgkmcnt(0)
	v_mul_f32_e32 v238, v246, v35
	v_dual_mul_f32 v250, v245, v35 :: v_dual_mul_f32 v35, v247, v13
	s_delay_alu instid0(VALU_DEP_2) | instskip(NEXT) | instid1(VALU_DEP_2)
	v_fma_f32 v249, v245, v34, -v238
	v_fmac_f32_e32 v250, v246, v34
	v_mul_f32_e32 v34, v248, v13
	s_delay_alu instid0(VALU_DEP_4) | instskip(NEXT) | instid1(VALU_DEP_2)
	v_fmac_f32_e32 v35, v248, v12
	v_fma_f32 v34, v247, v12, -v34
	v_add_nc_u32_e32 v12, 0x400, v203
	ds_store_2addr_b64 v12, v[0:1], v[42:43] offset0:16 offset1:160
	v_add_nc_u32_e32 v0, 0x1400, v203
	ds_store_2addr_b64 v0, v[14:15], v[6:7] offset0:80 offset1:224
	;; [unrolled: 2-line block ×9, first 2 shown]
	ds_store_2addr_b64 v46, v[18:19], v[2:3] offset0:16 offset1:160
	ds_store_2addr_b64 v156, v[10:11], v[22:23] offset0:48 offset1:192
	ds_store_b64 v203, v[34:35] offset:26496
	s_waitcnt lgkmcnt(0)
	s_barrier
	buffer_gl0_inv
	ds_load_2addr_b64 v[245:248], v203 offset1:144
	ds_load_2addr_b64 v[249:252], v220 offset1:144
	ds_load_2addr_b64 v[24:27], v162 offset0:64 offset1:208
	v_mov_b32_e32 v44, v235
	ds_load_2addr_b64 v[235:238], v159 offset1:144
	ds_load_2addr_b64 v[28:31], v216 offset0:64 offset1:208
	v_mov_b32_e32 v158, v216
	ds_load_2addr_b64 v[36:39], v255 offset0:32 offset1:176
	ds_load_2addr_b64 v[32:35], v44 offset0:64 offset1:208
	v_mov_b32_e32 v156, v220
	s_waitcnt lgkmcnt(5)
	v_dual_add_f32 v0, v245, v249 :: v_dual_add_f32 v1, v246, v250
	s_waitcnt lgkmcnt(3)
	s_delay_alu instid0(VALU_DEP_1) | instskip(SKIP_3) | instid1(VALU_DEP_2)
	v_dual_add_f32 v0, v0, v235 :: v_dual_add_f32 v1, v1, v236
	s_waitcnt lgkmcnt(0)
	v_dual_add_f32 v2, v24, v32 :: v_dual_add_f32 v3, v25, v33
	v_sub_f32_e32 v5, v33, v29
	v_dual_mov_b32 v157, v44 :: v_dual_add_f32 v2, v2, v28
	s_delay_alu instid0(VALU_DEP_1) | instskip(SKIP_2) | instid1(VALU_DEP_3)
	v_dual_add_f32 v3, v3, v29 :: v_dual_add_f32 v40, v0, v2
	v_sub_f32_e32 v2, v0, v2
	v_add_f32_e32 v0, v33, v29
	v_add_f32_e32 v41, v1, v3
	v_sub_f32_e32 v3, v1, v3
	v_sub_f32_e32 v1, v32, v28
	v_add_f32_e32 v33, v35, v31
	v_fma_f32 v0, -0.5, v0, v25
	s_delay_alu instid0(VALU_DEP_1) | instskip(SKIP_1) | instid1(VALU_DEP_1)
	v_fmamk_f32 v4, v1, 0x3f5db3d7, v0
	v_dual_fmac_f32 v0, 0xbf5db3d7, v1 :: v_dual_add_f32 v1, v249, v235
	v_mul_f32_e32 v29, 0xbf5db3d7, v0
	s_delay_alu instid0(VALU_DEP_2) | instskip(SKIP_2) | instid1(VALU_DEP_2)
	v_fma_f32 v25, -0.5, v1, v245
	v_sub_f32_e32 v1, v250, v236
	v_mov_b32_e32 v245, v45
	v_fmamk_f32 v220, v1, 0xbf5db3d7, v25
	v_fmac_f32_e32 v25, 0x3f5db3d7, v1
	v_add_f32_e32 v1, v250, v236
	s_delay_alu instid0(VALU_DEP_1) | instskip(SKIP_2) | instid1(VALU_DEP_2)
	v_fma_f32 v236, -0.5, v1, v246
	v_sub_f32_e32 v1, v249, v235
	v_mov_b32_e32 v249, v218
	v_fmamk_f32 v235, v1, 0x3f5db3d7, v236
	v_dual_fmac_f32 v236, 0xbf5db3d7, v1 :: v_dual_add_f32 v1, v32, v28
	v_mul_f32_e32 v28, 0.5, v4
	v_mul_f32_e32 v32, -0.5, v0
	s_delay_alu instid0(VALU_DEP_3) | instskip(SKIP_1) | instid1(VALU_DEP_2)
	v_fma_f32 v1, -0.5, v1, v24
	v_mul_f32_e32 v24, 0xbf5db3d7, v4
	v_fmamk_f32 v6, v5, 0xbf5db3d7, v1
	s_delay_alu instid0(VALU_DEP_1) | instskip(NEXT) | instid1(VALU_DEP_1)
	v_dual_fmac_f32 v1, 0x3f5db3d7, v5 :: v_dual_fmac_f32 v24, 0.5, v6
	v_dual_fmac_f32 v28, 0x3f5db3d7, v6 :: v_dual_fmac_f32 v29, -0.5, v1
	ds_load_2addr_b64 v[20:23], v218 offset0:96 offset1:240
	ds_load_2addr_b64 v[4:7], v47 offset0:32 offset1:176
	;; [unrolled: 1-line block ×4, first 2 shown]
	v_fmac_f32_e32 v32, 0x3f5db3d7, v1
	v_add_f32_e32 v42, v220, v24
	v_dual_add_f32 v43, v235, v28 :: v_dual_add_f32 v0, v25, v29
	ds_load_2addr_b64 v[16:19], v244 offset0:96 offset1:240
	v_add_f32_e32 v1, v236, v32
	s_waitcnt lgkmcnt(0)
	s_barrier
	buffer_gl0_inv
	ds_store_b128 v217, v[40:43]
	ds_store_b128 v217, v[0:3] offset:16
	v_sub_f32_e32 v0, v220, v24
	v_dual_sub_f32 v2, v25, v29 :: v_dual_sub_f32 v1, v235, v28
	v_dual_sub_f32 v3, v236, v32 :: v_dual_add_f32 v32, v27, v35
	v_dual_fmac_f32 v27, -0.5, v33 :: v_dual_add_f32 v24, v252, v238
	v_sub_f32_e32 v35, v35, v31
	ds_store_b128 v217, v[0:3] offset:32
	v_dual_add_f32 v0, v247, v251 :: v_dual_add_f32 v1, v248, v252
	v_dual_add_f32 v2, v251, v237 :: v_dual_add_f32 v31, v32, v31
	v_sub_f32_e32 v3, v252, v238
	s_delay_alu instid0(VALU_DEP_3) | instskip(SKIP_4) | instid1(VALU_DEP_4)
	v_dual_add_f32 v28, v0, v237 :: v_dual_add_f32 v29, v1, v238
	v_add_f32_e32 v0, v26, v34
	v_add_f32_e32 v1, v34, v30
	v_dual_sub_f32 v34, v34, v30 :: v_dual_sub_f32 v25, v251, v237
	v_fmac_f32_e32 v248, -0.5, v24
	v_add_f32_e32 v30, v0, v30
	s_delay_alu instid0(VALU_DEP_4) | instskip(NEXT) | instid1(VALU_DEP_4)
	v_fma_f32 v33, -0.5, v1, v26
	v_fmamk_f32 v32, v34, 0x3f5db3d7, v27
	v_fmac_f32_e32 v27, 0xbf5db3d7, v34
	s_delay_alu instid0(VALU_DEP_4) | instskip(SKIP_2) | instid1(VALU_DEP_4)
	v_dual_add_f32 v1, v29, v31 :: v_dual_add_f32 v0, v28, v30
	v_sub_f32_e32 v26, v28, v30
	v_fmamk_f32 v24, v35, 0xbf5db3d7, v33
	v_mul_f32_e32 v34, 0xbf5db3d7, v27
	v_mul_f32_e32 v40, -0.5, v27
	v_sub_f32_e32 v27, v29, v31
	v_fma_f32 v28, -0.5, v2, v247
	v_mul_f32_e32 v31, 0xbf5db3d7, v32
	v_dual_mul_f32 v32, 0.5, v32 :: v_dual_fmac_f32 v33, 0x3f5db3d7, v35
	v_fmamk_f32 v30, v25, 0x3f5db3d7, v248
	s_delay_alu instid0(VALU_DEP_4) | instskip(NEXT) | instid1(VALU_DEP_4)
	v_fmamk_f32 v29, v3, 0xbf5db3d7, v28
	v_fmac_f32_e32 v31, 0.5, v24
	s_delay_alu instid0(VALU_DEP_4)
	v_fmac_f32_e32 v32, 0x3f5db3d7, v24
	v_fmac_f32_e32 v28, 0x3f5db3d7, v3
	;; [unrolled: 1-line block ×3, first 2 shown]
	v_fmac_f32_e32 v34, -0.5, v33
	v_fmac_f32_e32 v40, 0x3f5db3d7, v33
	v_dual_add_f32 v2, v29, v31 :: v_dual_add_f32 v3, v30, v32
	v_mov_b32_e32 v246, v47
	s_delay_alu instid0(VALU_DEP_4) | instskip(NEXT) | instid1(VALU_DEP_4)
	v_add_f32_e32 v24, v28, v34
	v_add_f32_e32 v25, v248, v40
	ds_store_b128 v219, v[0:3]
	ds_store_b128 v219, v[24:27] offset:16
	v_dual_sub_f32 v3, v248, v40 :: v_dual_sub_f32 v0, v29, v31
	v_dual_sub_f32 v2, v28, v34 :: v_dual_sub_f32 v1, v30, v32
	ds_store_b128 v219, v[0:3] offset:32
	v_add_f32_e32 v0, v36, v4
	s_delay_alu instid0(VALU_DEP_1) | instskip(SKIP_1) | instid1(VALU_DEP_1)
	v_add_f32_e32 v2, v0, v8
	v_add_f32_e32 v0, v37, v5
	;; [unrolled: 1-line block ×4, first 2 shown]
	s_delay_alu instid0(VALU_DEP_1) | instskip(SKIP_1) | instid1(VALU_DEP_1)
	v_add_f32_e32 v24, v0, v16
	v_add_f32_e32 v0, v21, v13
	v_dual_sub_f32 v26, v2, v24 :: v_dual_add_f32 v25, v0, v17
	v_add_f32_e32 v0, v2, v24
	v_add_f32_e32 v2, v13, v17
	s_delay_alu instid0(VALU_DEP_3) | instskip(SKIP_1) | instid1(VALU_DEP_3)
	v_add_f32_e32 v1, v3, v25
	v_sub_f32_e32 v27, v3, v25
	v_fma_f32 v2, -0.5, v2, v21
	v_sub_f32_e32 v3, v12, v16
	s_delay_alu instid0(VALU_DEP_1) | instskip(SKIP_1) | instid1(VALU_DEP_1)
	v_fmamk_f32 v21, v3, 0x3f5db3d7, v2
	v_dual_fmac_f32 v2, 0xbf5db3d7, v3 :: v_dual_add_f32 v3, v4, v8
	v_fma_f32 v28, -0.5, v3, v36
	v_sub_f32_e32 v3, v5, v9
	s_delay_alu instid0(VALU_DEP_1) | instskip(SKIP_1) | instid1(VALU_DEP_1)
	v_fmamk_f32 v29, v3, 0xbf5db3d7, v28
	v_dual_fmac_f32 v28, 0x3f5db3d7, v3 :: v_dual_add_f32 v3, v5, v9
	v_fma_f32 v5, -0.5, v3, v37
	v_dual_sub_f32 v3, v4, v8 :: v_dual_sub_f32 v8, v13, v17
	s_delay_alu instid0(VALU_DEP_1)
	v_dual_mul_f32 v13, -0.5, v2 :: v_dual_fmamk_f32 v4, v3, 0x3f5db3d7, v5
	v_fmac_f32_e32 v5, 0xbf5db3d7, v3
	v_add_f32_e32 v3, v12, v16
	scratch_load_b32 v16, off, off offset:84 ; 4-byte Folded Reload
	v_mul_f32_e32 v12, 0.5, v21
	v_fma_f32 v3, -0.5, v3, v20
	s_delay_alu instid0(VALU_DEP_1) | instskip(SKIP_2) | instid1(VALU_DEP_2)
	v_fmamk_f32 v9, v8, 0xbf5db3d7, v3
	v_fmac_f32_e32 v3, 0x3f5db3d7, v8
	v_mul_f32_e32 v8, 0xbf5db3d7, v21
	v_dual_fmac_f32 v12, 0x3f5db3d7, v9 :: v_dual_fmac_f32 v13, 0x3f5db3d7, v3
	s_delay_alu instid0(VALU_DEP_2) | instskip(NEXT) | instid1(VALU_DEP_2)
	v_dual_fmac_f32 v8, 0.5, v9 :: v_dual_mul_f32 v9, 0xbf5db3d7, v2
	v_add_f32_e32 v25, v5, v13
	s_delay_alu instid0(VALU_DEP_2) | instskip(NEXT) | instid1(VALU_DEP_4)
	v_dual_add_f32 v2, v29, v8 :: v_dual_fmac_f32 v9, -0.5, v3
	v_add_f32_e32 v3, v4, v12
	s_delay_alu instid0(VALU_DEP_2)
	v_add_f32_e32 v24, v28, v9
	s_waitcnt vmcnt(0)
	ds_store_b128 v16, v[0:3]
	ds_store_b128 v16, v[24:27] offset:16
	v_sub_f32_e32 v0, v29, v8
	v_sub_f32_e32 v2, v28, v9
	;; [unrolled: 1-line block ×4, first 2 shown]
	v_add_f32_e32 v9, v15, v19
	v_add_f32_e32 v4, v7, v11
	v_dual_add_f32 v8, v23, v15 :: v_dual_sub_f32 v5, v6, v10
	ds_store_b128 v16, v[0:3] offset:32
	v_dual_add_f32 v1, v39, v7 :: v_dual_add_f32 v0, v38, v6
	v_sub_f32_e32 v3, v7, v11
	v_dual_fmac_f32 v23, -0.5, v9 :: v_dual_add_f32 v2, v6, v10
	s_delay_alu instid0(VALU_DEP_3)
	v_add_f32_e32 v7, v1, v11
	v_add_f32_e32 v1, v14, v18
	v_sub_f32_e32 v11, v14, v18
	v_add_f32_e32 v6, v0, v10
	v_sub_f32_e32 v10, v15, v19
	v_dual_add_f32 v0, v22, v14 :: v_dual_fmac_f32 v39, -0.5, v4
	s_delay_alu instid0(VALU_DEP_4) | instskip(SKIP_2) | instid1(VALU_DEP_4)
	v_fmamk_f32 v9, v11, 0x3f5db3d7, v23
	v_fmac_f32_e32 v23, 0xbf5db3d7, v11
	v_fma_f32 v11, -0.5, v1, v22
	v_add_f32_e32 v12, v0, v18
	s_delay_alu instid0(VALU_DEP_4) | instskip(NEXT) | instid1(VALU_DEP_4)
	v_dual_add_f32 v8, v8, v19 :: v_dual_mul_f32 v15, 0xbf5db3d7, v9
	v_mul_f32_e32 v13, 0xbf5db3d7, v23
	v_mul_f32_e32 v14, -0.5, v23
	v_fmamk_f32 v4, v10, 0xbf5db3d7, v11
	v_fmac_f32_e32 v11, 0x3f5db3d7, v10
	v_fma_f32 v10, -0.5, v2, v38
	v_dual_mul_f32 v9, 0.5, v9 :: v_dual_add_f32 v0, v6, v12
	s_delay_alu instid0(VALU_DEP_3)
	v_dual_add_f32 v1, v7, v8 :: v_dual_fmac_f32 v14, 0x3f5db3d7, v11
	v_fmac_f32_e32 v13, -0.5, v11
	scratch_load_b32 v11, off, off offset:80 ; 4-byte Folded Reload
	v_sub_f32_e32 v6, v6, v12
	v_dual_sub_f32 v7, v7, v8 :: v_dual_fmamk_f32 v8, v5, 0x3f5db3d7, v39
	v_dual_fmamk_f32 v12, v3, 0xbf5db3d7, v10 :: v_dual_fmac_f32 v15, 0.5, v4
	v_fmac_f32_e32 v9, 0x3f5db3d7, v4
	v_fmac_f32_e32 v39, 0xbf5db3d7, v5
	;; [unrolled: 1-line block ×3, first 2 shown]
	s_delay_alu instid0(VALU_DEP_4) | instskip(NEXT) | instid1(VALU_DEP_4)
	v_add_f32_e32 v2, v12, v15
	v_add_f32_e32 v3, v8, v9
	s_delay_alu instid0(VALU_DEP_3)
	v_dual_add_f32 v5, v39, v14 :: v_dual_add_f32 v4, v10, v13
	s_waitcnt vmcnt(0)
	ds_store_b128 v11, v[0:3]
	ds_store_b128 v11, v[4:7] offset:16
	v_dual_sub_f32 v3, v39, v14 :: v_dual_sub_f32 v0, v12, v15
	v_sub_f32_e32 v2, v10, v13
	v_sub_f32_e32 v1, v8, v9
	ds_store_b128 v11, v[0:3] offset:32
	s_waitcnt lgkmcnt(0)
	s_barrier
	buffer_gl0_inv
	ds_load_2addr_b64 v[0:3], v162 offset0:64 offset1:208
	ds_load_2addr_b64 v[4:7], v156 offset1:144
	ds_load_2addr_b64 v[11:14], v47 offset0:32 offset1:176
	ds_load_2addr_b64 v[20:23], v243 offset0:96 offset1:240
	;; [unrolled: 1-line block ×3, first 2 shown]
	s_waitcnt lgkmcnt(4)
	v_mul_f32_e32 v216, v137, v1
	s_waitcnt lgkmcnt(3)
	v_dual_mul_f32 v16, v145, v3 :: v_dual_mul_f32 v27, v139, v5
	s_waitcnt lgkmcnt(1)
	v_dual_mul_f32 v17, v147, v7 :: v_dual_mul_f32 v24, v141, v21
	v_fmac_f32_e32 v216, v136, v0
	v_mul_f32_e32 v0, v137, v0
	v_dual_fmac_f32 v16, v144, v2 :: v_dual_fmac_f32 v27, v138, v4
	s_delay_alu instid0(VALU_DEP_4) | instskip(NEXT) | instid1(VALU_DEP_3)
	v_dual_fmac_f32 v17, v146, v6 :: v_dual_fmac_f32 v24, v140, v20
	v_fma_f32 v217, v136, v1, -v0
	v_mul_f32_e32 v0, v139, v4
	s_waitcnt lgkmcnt(0)
	v_mul_f32_e32 v26, v143, v30
	v_mul_f32_e32 v9, v135, v32
	s_delay_alu instid0(VALU_DEP_3) | instskip(SKIP_1) | instid1(VALU_DEP_4)
	v_fma_f32 v33, v138, v5, -v0
	v_mul_f32_e32 v0, v145, v2
	v_fmac_f32_e32 v26, v142, v29
	s_delay_alu instid0(VALU_DEP_4) | instskip(NEXT) | instid1(VALU_DEP_3)
	v_fmac_f32_e32 v9, v134, v31
	v_fma_f32 v8, v144, v3, -v0
	v_mul_f32_e32 v0, v147, v6
	s_delay_alu instid0(VALU_DEP_1)
	v_fma_f32 v10, v146, v7, -v0
	ds_load_2addr_b64 v[0:3], v44 offset0:64 offset1:208
	ds_load_2addr_b64 v[4:7], v159 offset1:144
	s_waitcnt lgkmcnt(0)
	v_dual_mul_f32 v34, v153, v1 :: v_dual_mul_f32 v219, v151, v7
	v_mul_f32_e32 v36, v155, v5
	v_mul_f32_e32 v18, v149, v3
	s_delay_alu instid0(VALU_DEP_3) | instskip(NEXT) | instid1(VALU_DEP_4)
	v_fmac_f32_e32 v34, v152, v0
	v_dual_mul_f32 v0, v153, v0 :: v_dual_fmac_f32 v219, v150, v6
	s_delay_alu instid0(VALU_DEP_4) | instskip(NEXT) | instid1(VALU_DEP_4)
	v_fmac_f32_e32 v36, v154, v4
	v_fmac_f32_e32 v18, v148, v2
	s_delay_alu instid0(VALU_DEP_3) | instskip(SKIP_1) | instid1(VALU_DEP_2)
	v_fma_f32 v35, v152, v1, -v0
	v_mul_f32_e32 v0, v155, v4
	v_add_f32_e32 v42, v217, v35
	s_delay_alu instid0(VALU_DEP_2) | instskip(SKIP_1) | instid1(VALU_DEP_2)
	v_fma_f32 v37, v154, v5, -v0
	v_mul_f32_e32 v0, v149, v2
	v_sub_f32_e32 v41, v33, v37
	s_delay_alu instid0(VALU_DEP_2) | instskip(SKIP_2) | instid1(VALU_DEP_2)
	v_fma_f32 v218, v148, v3, -v0
	v_mul_f32_e32 v0, v151, v6
	v_mul_f32_e32 v3, v131, v14
	v_fma_f32 v220, v150, v7, -v0
	ds_load_2addr_b64 v[4:7], v249 offset0:96 offset1:240
	s_waitcnt lgkmcnt(0)
	v_dual_fmac_f32 v3, v130, v13 :: v_dual_mul_f32 v0, v125, v4
	v_mul_f32_e32 v2, v125, v5
	v_mul_f32_e32 v1, v129, v6
	s_delay_alu instid0(VALU_DEP_3) | instskip(SKIP_1) | instid1(VALU_DEP_4)
	v_fma_f32 v5, v124, v5, -v0
	v_mul_f32_e32 v0, v127, v11
	v_fmac_f32_e32 v2, v124, v4
	v_mul_f32_e32 v4, v131, v13
	v_fma_f32 v1, v128, v7, -v1
	s_delay_alu instid0(VALU_DEP_4) | instskip(SKIP_1) | instid1(VALU_DEP_4)
	v_fma_f32 v19, v126, v12, -v0
	v_mul_f32_e32 v0, v129, v7
	v_fma_f32 v4, v130, v14, -v4
	v_mul_f32_e32 v7, v133, v22
	s_delay_alu instid0(VALU_DEP_3) | instskip(SKIP_1) | instid1(VALU_DEP_3)
	v_fmac_f32_e32 v0, v128, v6
	v_mul_f32_e32 v6, v141, v20
	v_fma_f32 v7, v132, v23, -v7
	s_delay_alu instid0(VALU_DEP_2) | instskip(SKIP_1) | instid1(VALU_DEP_1)
	v_fma_f32 v25, v140, v21, -v6
	v_mul_f32_e32 v6, v143, v29
	v_fma_f32 v14, v142, v30, -v6
	v_mul_f32_e32 v6, v133, v23
	s_delay_alu instid0(VALU_DEP_1) | instskip(SKIP_3) | instid1(VALU_DEP_1)
	v_fmac_f32_e32 v6, v132, v22
	ds_load_2addr_b64 v[20:23], v158 offset0:64 offset1:208
	s_waitcnt lgkmcnt(0)
	v_dual_mul_f32 v38, v202, v23 :: v_dual_mul_f32 v29, v205, v21
	v_fmac_f32_e32 v38, v201, v22
	v_mul_f32_e32 v28, v127, v12
	v_mul_f32_e32 v12, v205, v20
	s_delay_alu instid0(VALU_DEP_2) | instskip(NEXT) | instid1(VALU_DEP_2)
	v_dual_fmac_f32 v29, v204, v20 :: v_dual_fmac_f32 v28, v126, v11
	v_fma_f32 v30, v204, v21, -v12
	v_dual_mul_f32 v12, v202, v22 :: v_dual_mul_f32 v11, v135, v31
	s_delay_alu instid0(VALU_DEP_3) | instskip(SKIP_1) | instid1(VALU_DEP_4)
	v_add_f32_e32 v43, v34, v29
	v_sub_f32_e32 v124, v34, v29
	v_add_f32_e32 v42, v42, v30
	s_delay_alu instid0(VALU_DEP_4)
	v_fma_f32 v39, v201, v23, -v12
	ds_load_2addr_b64 v[20:23], v244 offset0:96 offset1:240
	v_fma_f32 v11, v134, v32, -v11
	v_add_f32_e32 v32, v27, v36
	s_waitcnt lgkmcnt(0)
	v_mul_f32_e32 v12, v166, v20
	v_mul_f32_e32 v15, v166, v21
	;; [unrolled: 1-line block ×3, first 2 shown]
	s_delay_alu instid0(VALU_DEP_3) | instskip(NEXT) | instid1(VALU_DEP_3)
	v_fma_f32 v40, v165, v21, -v12
	v_dual_mul_f32 v12, v168, v23 :: v_dual_fmac_f32 v15, v165, v20
	s_delay_alu instid0(VALU_DEP_3) | instskip(NEXT) | instid1(VALU_DEP_2)
	v_fma_f32 v13, v167, v23, -v13
	v_fmac_f32_e32 v12, v167, v22
	ds_load_2addr_b64 v[20:23], v203 offset1:144
	s_waitcnt lgkmcnt(0)
	v_add_f32_e32 v31, v20, v27
	v_sub_f32_e32 v27, v27, v36
	v_fma_f32 v127, -0.5, v32, v20
	s_delay_alu instid0(VALU_DEP_3) | instskip(SKIP_1) | instid1(VALU_DEP_3)
	v_dual_add_f32 v36, v31, v36 :: v_dual_add_f32 v31, v21, v33
	v_add_f32_e32 v33, v33, v37
	v_fmamk_f32 v129, v41, 0xbf5db3d7, v127
	v_fmac_f32_e32 v127, 0x3f5db3d7, v41
	s_delay_alu instid0(VALU_DEP_4) | instskip(SKIP_3) | instid1(VALU_DEP_4)
	v_add_f32_e32 v37, v31, v37
	v_add_f32_e32 v31, v35, v30
	v_sub_f32_e32 v35, v35, v30
	v_fma_f32 v128, -0.5, v33, v21
	v_add_f32_e32 v21, v37, v42
	s_delay_alu instid0(VALU_DEP_4) | instskip(SKIP_1) | instid1(VALU_DEP_1)
	v_fmac_f32_e32 v217, -0.5, v31
	v_dual_add_f32 v31, v216, v34 :: v_dual_fmac_f32 v216, -0.5, v43
	v_add_f32_e32 v125, v31, v29
	s_delay_alu instid0(VALU_DEP_3) | instskip(NEXT) | instid1(VALU_DEP_2)
	v_fmamk_f32 v29, v124, 0x3f5db3d7, v217
	v_dual_fmac_f32 v217, 0xbf5db3d7, v124 :: v_dual_add_f32 v20, v36, v125
	s_delay_alu instid0(VALU_DEP_2) | instskip(SKIP_1) | instid1(VALU_DEP_3)
	v_mul_f32_e32 v43, 0xbf5db3d7, v29
	v_dual_mul_f32 v126, 0.5, v29 :: v_dual_fmamk_f32 v29, v35, 0xbf5db3d7, v216
	v_dual_fmac_f32 v216, 0x3f5db3d7, v35 :: v_dual_mul_f32 v35, -0.5, v217
	s_delay_alu instid0(VALU_DEP_2) | instskip(NEXT) | instid1(VALU_DEP_3)
	v_fmac_f32_e32 v43, 0.5, v29
	v_fmac_f32_e32 v126, 0x3f5db3d7, v29
	ds_load_2addr_b64 v[29:32], v255 offset0:32 offset1:176
	s_waitcnt lgkmcnt(0)
	s_barrier
	buffer_gl0_inv
	scratch_load_b32 v44, off, off offset:96 ; 4-byte Folded Reload
	v_fmamk_f32 v130, v27, 0x3f5db3d7, v128
	v_dual_fmac_f32 v128, 0xbf5db3d7, v27 :: v_dual_mul_f32 v27, 0xbf5db3d7, v217
	v_add_f32_e32 v33, v129, v43
	s_delay_alu instid0(VALU_DEP_3) | instskip(NEXT) | instid1(VALU_DEP_3)
	v_dual_fmac_f32 v35, 0x3f5db3d7, v216 :: v_dual_add_f32 v34, v130, v126
	v_fmac_f32_e32 v27, -0.5, v216
	s_waitcnt vmcnt(0)
	ds_store_2addr_b64 v44, v[20:21], v[33:34] offset1:6
	v_dual_sub_f32 v20, v36, v125 :: v_dual_sub_f32 v21, v37, v42
	v_add_f32_e32 v33, v127, v27
	v_add_f32_e32 v34, v128, v35
	ds_store_2addr_b64 v44, v[33:34], v[20:21] offset0:12 offset1:18
	v_dual_sub_f32 v20, v129, v43 :: v_dual_sub_f32 v21, v130, v126
	v_sub_f32_e32 v33, v127, v27
	v_sub_f32_e32 v34, v128, v35
	v_add_f32_e32 v27, v8, v218
	ds_store_2addr_b64 v44, v[20:21], v[33:34] offset0:24 offset1:30
	scratch_load_b32 v44, off, off offset:92 ; 4-byte Folded Reload
	v_dual_add_f32 v20, v10, v220 :: v_dual_add_f32 v21, v23, v10
	v_dual_add_f32 v33, v16, v18 :: v_dual_sub_f32 v34, v17, v219
	v_sub_f32_e32 v10, v10, v220
	s_delay_alu instid0(VALU_DEP_3) | instskip(NEXT) | instid1(VALU_DEP_3)
	v_dual_fmac_f32 v23, -0.5, v20 :: v_dual_add_f32 v20, v218, v39
	v_add_f32_e32 v33, v33, v38
	v_dual_add_f32 v27, v27, v39 :: v_dual_add_f32 v36, v21, v220
	s_delay_alu instid0(VALU_DEP_3) | instskip(SKIP_1) | instid1(VALU_DEP_1)
	v_dual_fmamk_f32 v43, v34, 0x3f5db3d7, v23 :: v_dual_fmac_f32 v8, -0.5, v20
	v_add_f32_e32 v20, v18, v38
	v_dual_fmac_f32 v23, 0xbf5db3d7, v34 :: v_dual_fmac_f32 v16, -0.5, v20
	v_dual_add_f32 v20, v22, v17 :: v_dual_add_f32 v17, v17, v219
	v_sub_f32_e32 v37, v18, v38
	v_sub_f32_e32 v38, v218, v39
	s_delay_alu instid0(VALU_DEP_3) | instskip(NEXT) | instid1(VALU_DEP_4)
	v_add_f32_e32 v35, v20, v219
	v_fma_f32 v22, -0.5, v17, v22
	s_delay_alu instid0(VALU_DEP_4) | instskip(SKIP_1) | instid1(VALU_DEP_3)
	v_fmamk_f32 v18, v37, 0x3f5db3d7, v8
	v_fmac_f32_e32 v8, 0xbf5db3d7, v37
	v_dual_add_f32 v17, v35, v33 :: v_dual_fmamk_f32 v42, v10, 0xbf5db3d7, v22
	s_delay_alu instid0(VALU_DEP_3) | instskip(SKIP_4) | instid1(VALU_DEP_4)
	v_mul_f32_e32 v39, 0xbf5db3d7, v18
	v_dual_mul_f32 v41, 0.5, v18 :: v_dual_fmamk_f32 v18, v38, 0xbf5db3d7, v16
	v_fmac_f32_e32 v16, 0x3f5db3d7, v38
	v_fmac_f32_e32 v22, 0x3f5db3d7, v10
	v_mul_f32_e32 v10, -0.5, v8
	v_dual_mul_f32 v8, 0xbf5db3d7, v8 :: v_dual_fmac_f32 v39, 0.5, v18
	v_dual_fmac_f32 v41, 0x3f5db3d7, v18 :: v_dual_add_f32 v18, v36, v27
	s_delay_alu instid0(VALU_DEP_3) | instskip(NEXT) | instid1(VALU_DEP_3)
	v_fmac_f32_e32 v10, 0x3f5db3d7, v16
	v_fmac_f32_e32 v8, -0.5, v16
	s_delay_alu instid0(VALU_DEP_3) | instskip(NEXT) | instid1(VALU_DEP_2)
	v_dual_add_f32 v20, v42, v39 :: v_dual_add_f32 v21, v43, v41
	v_sub_f32_e32 v16, v22, v8
	s_waitcnt vmcnt(0)
	ds_store_2addr_b64 v44, v[17:18], v[20:21] offset1:6
	v_dual_sub_f32 v17, v35, v33 :: v_dual_sub_f32 v18, v36, v27
	v_dual_add_f32 v21, v23, v10 :: v_dual_add_f32 v20, v22, v8
	v_sub_f32_e32 v22, v24, v15
	v_add_f32_e32 v8, v29, v28
	ds_store_2addr_b64 v44, v[20:21], v[17:18] offset0:12 offset1:18
	v_dual_sub_f32 v17, v23, v10 :: v_dual_sub_f32 v20, v42, v39
	v_dual_sub_f32 v21, v43, v41 :: v_dual_add_f32 v10, v28, v26
	v_sub_f32_e32 v18, v28, v26
	v_add_f32_e32 v8, v8, v26
	ds_store_2addr_b64 v44, v[20:21], v[16:17] offset0:24 offset1:30
	v_dual_add_f32 v17, v19, v14 :: v_dual_add_f32 v16, v30, v19
	v_dual_sub_f32 v20, v19, v14 :: v_dual_add_f32 v21, v24, v15
	v_fma_f32 v10, -0.5, v10, v29
	s_delay_alu instid0(VALU_DEP_3)
	v_fma_f32 v27, -0.5, v17, v30
	scratch_load_b32 v30, off, off offset:88 ; 4-byte Folded Reload
	v_dual_add_f32 v19, v16, v14 :: v_dual_add_f32 v14, v25, v40
	v_add_f32_e32 v16, v5, v25
	v_fmamk_f32 v28, v20, 0xbf5db3d7, v10
	v_dual_fmamk_f32 v29, v18, 0x3f5db3d7, v27 :: v_dual_fmac_f32 v10, 0x3f5db3d7, v20
	s_delay_alu instid0(VALU_DEP_4) | instskip(SKIP_2) | instid1(VALU_DEP_3)
	v_dual_fmac_f32 v5, -0.5, v14 :: v_dual_add_f32 v14, v2, v24
	v_dual_fmac_f32 v2, -0.5, v21 :: v_dual_sub_f32 v21, v25, v40
	v_dual_add_f32 v24, v16, v40 :: v_dual_fmac_f32 v27, 0xbf5db3d7, v18
	v_add_f32_e32 v23, v14, v15
	s_delay_alu instid0(VALU_DEP_4) | instskip(SKIP_1) | instid1(VALU_DEP_4)
	v_fmamk_f32 v14, v22, 0x3f5db3d7, v5
	v_fmac_f32_e32 v5, 0xbf5db3d7, v22
	v_add_f32_e32 v15, v19, v24
	s_delay_alu instid0(VALU_DEP_3) | instskip(SKIP_2) | instid1(VALU_DEP_1)
	v_mul_f32_e32 v25, 0xbf5db3d7, v14
	v_mul_f32_e32 v26, 0.5, v14
	v_fmamk_f32 v14, v21, 0xbf5db3d7, v2
	v_dual_fmac_f32 v2, 0x3f5db3d7, v21 :: v_dual_fmac_f32 v25, 0.5, v14
	s_delay_alu instid0(VALU_DEP_3) | instskip(SKIP_1) | instid1(VALU_DEP_2)
	v_fmac_f32_e32 v26, 0x3f5db3d7, v14
	v_add_f32_e32 v14, v8, v23
	v_dual_add_f32 v16, v28, v25 :: v_dual_add_f32 v17, v29, v26
	s_waitcnt vmcnt(0)
	ds_store_2addr_b64 v30, v[14:15], v[16:17] offset1:6
	v_sub_f32_e32 v15, v19, v24
	scratch_load_b32 v19, off, off offset:100 ; 4-byte Folded Reload
	v_sub_f32_e32 v14, v8, v23
	v_mul_f32_e32 v8, 0xbf5db3d7, v5
	s_delay_alu instid0(VALU_DEP_1) | instskip(NEXT) | instid1(VALU_DEP_1)
	v_dual_mul_f32 v5, -0.5, v5 :: v_dual_fmac_f32 v8, -0.5, v2
	v_dual_fmac_f32 v5, 0x3f5db3d7, v2 :: v_dual_add_f32 v2, v4, v11
	s_delay_alu instid0(VALU_DEP_1)
	v_dual_add_f32 v16, v10, v8 :: v_dual_add_f32 v17, v27, v5
	ds_store_2addr_b64 v30, v[16:17], v[14:15] offset0:12 offset1:18
	v_sub_f32_e32 v17, v27, v5
	v_dual_add_f32 v5, v32, v4 :: v_dual_fmac_f32 v32, -0.5, v2
	v_add_f32_e32 v2, v31, v3
	v_sub_f32_e32 v16, v10, v8
	v_sub_f32_e32 v10, v4, v11
	s_delay_alu instid0(VALU_DEP_4)
	v_add_f32_e32 v11, v5, v11
	v_add_f32_e32 v4, v1, v7
	;; [unrolled: 1-line block ×4, first 2 shown]
	v_sub_f32_e32 v9, v3, v9
	v_add_f32_e32 v3, v7, v13
	v_add_f32_e32 v5, v0, v6
	v_dual_sub_f32 v14, v28, v25 :: v_dual_sub_f32 v15, v29, v26
	v_sub_f32_e32 v7, v7, v13
	s_delay_alu instid0(VALU_DEP_4)
	v_fmac_f32_e32 v1, -0.5, v3
	v_add_f32_e32 v3, v6, v12
	v_sub_f32_e32 v6, v6, v12
	ds_store_2addr_b64 v30, v[14:15], v[16:17] offset0:24 offset1:30
	v_fma_f32 v16, -0.5, v2, v31
	v_add_f32_e32 v12, v5, v12
	v_dual_fmac_f32 v0, -0.5, v3 :: v_dual_fmamk_f32 v3, v6, 0x3f5db3d7, v1
	v_add_f32_e32 v13, v4, v13
	s_delay_alu instid0(VALU_DEP_4)
	v_fmamk_f32 v17, v10, 0xbf5db3d7, v16
	v_fmamk_f32 v18, v9, 0x3f5db3d7, v32
	v_add_f32_e32 v2, v8, v12
	v_mul_f32_e32 v14, 0xbf5db3d7, v3
	v_mul_f32_e32 v15, 0.5, v3
	v_fmamk_f32 v3, v7, 0xbf5db3d7, v0
	v_fmac_f32_e32 v1, 0xbf5db3d7, v6
	v_fmac_f32_e32 v0, 0x3f5db3d7, v7
	;; [unrolled: 1-line block ×4, first 2 shown]
	v_fmac_f32_e32 v14, 0.5, v3
	v_fmac_f32_e32 v15, 0x3f5db3d7, v3
	s_delay_alu instid0(VALU_DEP_2) | instskip(NEXT) | instid1(VALU_DEP_2)
	v_dual_add_f32 v3, v11, v13 :: v_dual_add_f32 v4, v17, v14
	v_add_f32_e32 v5, v18, v15
	s_waitcnt vmcnt(0)
	ds_store_2addr_b64 v19, v[2:3], v[4:5] offset1:6
	v_mul_f32_e32 v4, 0xbf5db3d7, v1
	v_dual_mul_f32 v5, -0.5, v1 :: v_dual_sub_f32 v2, v8, v12
	s_delay_alu instid0(VALU_DEP_2) | instskip(NEXT) | instid1(VALU_DEP_2)
	v_dual_sub_f32 v3, v11, v13 :: v_dual_fmac_f32 v4, -0.5, v0
	v_fmac_f32_e32 v5, 0x3f5db3d7, v0
	s_delay_alu instid0(VALU_DEP_2) | instskip(NEXT) | instid1(VALU_DEP_2)
	v_add_f32_e32 v0, v16, v4
	v_add_f32_e32 v1, v32, v5
	ds_store_2addr_b64 v19, v[0:1], v[2:3] offset0:12 offset1:18
	v_sub_f32_e32 v1, v32, v5
	v_sub_f32_e32 v0, v16, v4
	v_dual_sub_f32 v2, v17, v14 :: v_dual_sub_f32 v3, v18, v15
	ds_store_2addr_b64 v19, v[2:3], v[0:1] offset0:24 offset1:30
	s_waitcnt lgkmcnt(0)
	s_barrier
	buffer_gl0_inv
	ds_load_2addr_b64 v[2:5], v162 offset0:64 offset1:208
	ds_load_2addr_b64 v[14:17], v156 offset1:144
	ds_load_2addr_b64 v[18:21], v157 offset0:64 offset1:208
	ds_load_2addr_b64 v[22:25], v159 offset1:144
	ds_load_2addr_b64 v[30:33], v47 offset0:32 offset1:176
	ds_load_2addr_b64 v[26:29], v249 offset0:96 offset1:240
	s_waitcnt lgkmcnt(5)
	v_mul_f32_e32 v0, v61, v2
	v_mul_f32_e32 v7, v61, v3
	s_waitcnt lgkmcnt(4)
	v_mul_f32_e32 v34, v63, v15
	s_waitcnt lgkmcnt(3)
	v_mul_f32_e32 v36, v121, v19
	s_waitcnt lgkmcnt(1)
	v_mul_f32_e32 v12, v75, v31
	v_fma_f32 v11, v60, v3, -v0
	v_dual_mul_f32 v0, v63, v14 :: v_dual_mul_f32 v3, v113, v5
	v_mul_f32_e32 v6, v59, v33
	s_delay_alu instid0(VALU_DEP_4) | instskip(SKIP_1) | instid1(VALU_DEP_4)
	v_fmac_f32_e32 v12, v74, v30
	v_mul_f32_e32 v38, v123, v23
	v_fma_f32 v35, v62, v15, -v0
	v_dual_mul_f32 v0, v113, v4 :: v_dual_mul_f32 v15, v115, v17
	s_delay_alu instid0(VALU_DEP_3) | instskip(SKIP_1) | instid1(VALU_DEP_3)
	v_dual_fmac_f32 v3, v112, v4 :: v_dual_fmac_f32 v38, v122, v22
	v_mul_f32_e32 v8, v59, v32
	v_fma_f32 v5, v112, v5, -v0
	v_mul_f32_e32 v0, v115, v16
	v_fmac_f32_e32 v34, v62, v14
	v_fmac_f32_e32 v6, v58, v32
	v_fma_f32 v8, v58, v33, -v8
	v_fmac_f32_e32 v7, v60, v2
	v_fma_f32 v17, v114, v17, -v0
	v_mul_f32_e32 v0, v121, v18
	s_waitcnt lgkmcnt(0)
	v_dual_mul_f32 v1, v57, v28 :: v_dual_fmac_f32 v36, v120, v18
	v_fmac_f32_e32 v15, v114, v16
	s_delay_alu instid0(VALU_DEP_3) | instskip(SKIP_3) | instid1(VALU_DEP_3)
	v_fma_f32 v37, v120, v19, -v0
	v_dual_mul_f32 v0, v123, v22 :: v_dual_mul_f32 v19, v117, v21
	v_mul_f32_e32 v22, v119, v25
	v_fma_f32 v1, v56, v29, -v1
	v_fma_f32 v39, v122, v23, -v0
	v_mul_f32_e32 v0, v117, v20
	v_fmac_f32_e32 v19, v116, v20
	s_delay_alu instid0(VALU_DEP_3) | instskip(NEXT) | instid1(VALU_DEP_3)
	v_sub_f32_e32 v47, v35, v39
	v_fma_f32 v21, v116, v21, -v0
	v_mul_f32_e32 v0, v119, v24
	s_delay_alu instid0(VALU_DEP_1) | instskip(SKIP_1) | instid1(VALU_DEP_1)
	v_fma_f32 v25, v118, v25, -v0
	v_mul_f32_e32 v0, v73, v26
	v_fma_f32 v4, v72, v27, -v0
	v_mul_f32_e32 v0, v75, v30
	s_delay_alu instid0(VALU_DEP_1)
	v_fma_f32 v14, v74, v31, -v0
	ds_load_2addr_b64 v[30:33], v45 offset0:32 offset1:176
	v_fmac_f32_e32 v22, v118, v24
	s_waitcnt lgkmcnt(0)
	v_dual_mul_f32 v40, v184, v31 :: v_dual_mul_f32 v13, v51, v33
	v_mul_f32_e32 v16, v51, v32
	s_delay_alu instid0(VALU_DEP_2) | instskip(NEXT) | instid1(VALU_DEP_3)
	v_fmac_f32_e32 v40, v183, v30
	v_dual_mul_f32 v2, v73, v27 :: v_dual_fmac_f32 v13, v50, v32
	s_delay_alu instid0(VALU_DEP_3) | instskip(NEXT) | instid1(VALU_DEP_2)
	v_fma_f32 v16, v50, v33, -v16
	v_fmac_f32_e32 v2, v72, v26
	v_mul_f32_e32 v0, v57, v29
	s_delay_alu instid0(VALU_DEP_1) | instskip(SKIP_4) | instid1(VALU_DEP_2)
	v_fmac_f32_e32 v0, v56, v28
	ds_load_2addr_b64 v[26:29], v243 offset0:96 offset1:240
	s_waitcnt lgkmcnt(0)
	v_mul_f32_e32 v9, v182, v26
	v_dual_mul_f32 v23, v182, v27 :: v_dual_mul_f32 v10, v49, v28
	v_fma_f32 v24, v181, v27, -v9
	v_mul_f32_e32 v9, v184, v30
	s_delay_alu instid0(VALU_DEP_3) | instskip(NEXT) | instid1(VALU_DEP_4)
	v_fmac_f32_e32 v23, v181, v26
	v_fma_f32 v10, v48, v29, -v10
	s_delay_alu instid0(VALU_DEP_3) | instskip(SKIP_1) | instid1(VALU_DEP_1)
	v_fma_f32 v41, v183, v31, -v9
	v_mul_f32_e32 v9, v49, v29
	v_fmac_f32_e32 v9, v48, v28
	ds_load_2addr_b64 v[26:29], v158 offset0:64 offset1:208
	s_waitcnt lgkmcnt(0)
	v_mul_f32_e32 v18, v170, v26
	v_mul_f32_e32 v30, v170, v27
	;; [unrolled: 1-line block ×3, first 2 shown]
	s_delay_alu instid0(VALU_DEP_3) | instskip(SKIP_1) | instid1(VALU_DEP_4)
	v_fma_f32 v31, v169, v27, -v18
	v_mul_f32_e32 v18, v172, v28
	v_fmac_f32_e32 v30, v169, v26
	s_delay_alu instid0(VALU_DEP_4) | instskip(NEXT) | instid1(VALU_DEP_3)
	v_fmac_f32_e32 v42, v171, v28
	v_fma_f32 v43, v171, v29, -v18
	ds_load_2addr_b64 v[26:29], v244 offset0:96 offset1:240
	s_waitcnt lgkmcnt(0)
	v_mul_f32_e32 v18, v164, v26
	v_mul_f32_e32 v44, v164, v27
	;; [unrolled: 1-line block ×3, first 2 shown]
	s_delay_alu instid0(VALU_DEP_3) | instskip(SKIP_1) | instid1(VALU_DEP_4)
	v_fma_f32 v45, v163, v27, -v18
	v_mul_f32_e32 v18, v161, v29
	v_fmac_f32_e32 v44, v163, v26
	s_delay_alu instid0(VALU_DEP_4) | instskip(NEXT) | instid1(VALU_DEP_3)
	v_fma_f32 v20, v160, v29, -v20
	v_fmac_f32_e32 v18, v160, v28
	ds_load_2addr_b64 v[26:29], v203 offset1:144
	v_add_f32_e32 v48, v7, v36
	s_delay_alu instid0(VALU_DEP_1) | instskip(SKIP_2) | instid1(VALU_DEP_1)
	v_add_f32_e32 v48, v48, v30
	s_waitcnt lgkmcnt(0)
	v_dual_add_f32 v32, v26, v34 :: v_dual_add_f32 v33, v27, v35
	v_add_f32_e32 v46, v32, v38
	v_add_f32_e32 v32, v34, v38
	v_sub_f32_e32 v38, v34, v38
	v_add_f32_e32 v34, v35, v39
	v_add_f32_e32 v39, v33, v39
	;; [unrolled: 1-line block ×4, first 2 shown]
	v_sub_f32_e32 v37, v37, v31
	v_fma_f32 v56, -0.5, v32, v26
	v_fma_f32 v57, -0.5, v34, v27
	v_fmac_f32_e32 v11, -0.5, v33
	v_add_f32_e32 v33, v36, v30
	v_dual_sub_f32 v36, v36, v30 :: v_dual_add_f32 v49, v35, v31
	v_fmamk_f32 v58, v47, 0xbf5db3d7, v56
	v_fmamk_f32 v59, v38, 0x3f5db3d7, v57
	s_delay_alu instid0(VALU_DEP_4) | instskip(NEXT) | instid1(VALU_DEP_4)
	v_fmac_f32_e32 v7, -0.5, v33
	v_fmamk_f32 v30, v36, 0x3f5db3d7, v11
	v_fmac_f32_e32 v11, 0xbf5db3d7, v36
	v_dual_add_f32 v26, v46, v48 :: v_dual_add_f32 v27, v39, v49
	v_fmac_f32_e32 v56, 0x3f5db3d7, v47
	s_delay_alu instid0(VALU_DEP_4)
	v_mul_f32_e32 v50, 0xbf5db3d7, v30
	v_dual_mul_f32 v51, 0.5, v30 :: v_dual_fmamk_f32 v30, v37, 0xbf5db3d7, v7
	v_fmac_f32_e32 v7, 0x3f5db3d7, v37
	v_mul_f32_e32 v36, 0xbf5db3d7, v11
	v_mul_f32_e32 v11, -0.5, v11
	v_fmac_f32_e32 v57, 0xbf5db3d7, v38
	v_fmac_f32_e32 v50, 0.5, v30
	v_fmac_f32_e32 v51, 0x3f5db3d7, v30
	ds_load_2addr_b64 v[30:33], v255 offset0:32 offset1:176
	s_waitcnt lgkmcnt(0)
	s_barrier
	buffer_gl0_inv
	scratch_load_b32 v60, off, off offset:112 ; 4-byte Folded Reload
	v_dual_add_f32 v34, v58, v50 :: v_dual_add_f32 v35, v59, v51
	v_fmac_f32_e32 v36, -0.5, v7
	v_fmac_f32_e32 v11, 0x3f5db3d7, v7
	v_add_f32_e32 v7, v17, v25
	s_waitcnt vmcnt(0)
	ds_store_2addr_b64 v60, v[26:27], v[34:35] offset1:36
	v_dual_sub_f32 v26, v46, v48 :: v_dual_sub_f32 v27, v39, v49
	v_dual_add_f32 v34, v56, v36 :: v_dual_add_f32 v35, v57, v11
	ds_store_2addr_b64 v60, v[34:35], v[26:27] offset0:72 offset1:108
	v_dual_sub_f32 v26, v58, v50 :: v_dual_sub_f32 v27, v59, v51
	v_dual_sub_f32 v34, v56, v36 :: v_dual_sub_f32 v35, v57, v11
	v_add_f32_e32 v11, v29, v17
	v_fmac_f32_e32 v29, -0.5, v7
	v_add_f32_e32 v7, v28, v15
	v_sub_f32_e32 v17, v17, v25
	ds_store_2addr_b64 v60, v[26:27], v[34:35] offset0:144 offset1:180
	v_add_f32_e32 v26, v15, v22
	v_sub_f32_e32 v15, v15, v22
	v_dual_add_f32 v7, v7, v22 :: v_dual_add_f32 v22, v21, v43
	v_add_f32_e32 v27, v3, v19
	v_add_f32_e32 v11, v11, v25
	;; [unrolled: 1-line block ×3, first 2 shown]
	s_delay_alu instid0(VALU_DEP_4)
	v_dual_sub_f32 v34, v21, v43 :: v_dual_fmac_f32 v5, -0.5, v22
	v_add_f32_e32 v22, v19, v42
	v_sub_f32_e32 v19, v19, v42
	v_add_f32_e32 v27, v27, v42
	scratch_load_b32 v42, off, off offset:108 ; 4-byte Folded Reload
	v_fma_f32 v28, -0.5, v26, v28
	v_fmac_f32_e32 v3, -0.5, v22
	v_fmamk_f32 v21, v19, 0x3f5db3d7, v5
	v_add_f32_e32 v35, v25, v43
	v_fmamk_f32 v39, v15, 0x3f5db3d7, v29
	v_dual_fmamk_f32 v38, v17, 0xbf5db3d7, v28 :: v_dual_fmac_f32 v5, 0xbf5db3d7, v19
	s_delay_alu instid0(VALU_DEP_4) | instskip(SKIP_3) | instid1(VALU_DEP_2)
	v_mul_f32_e32 v36, 0xbf5db3d7, v21
	v_mul_f32_e32 v37, 0.5, v21
	v_dual_fmamk_f32 v21, v34, 0xbf5db3d7, v3 :: v_dual_add_f32 v22, v11, v35
	v_dual_fmac_f32 v3, 0x3f5db3d7, v34 :: v_dual_fmac_f32 v28, 0x3f5db3d7, v17
	v_dual_fmac_f32 v29, 0xbf5db3d7, v15 :: v_dual_fmac_f32 v36, 0.5, v21
	s_delay_alu instid0(VALU_DEP_4) | instskip(SKIP_2) | instid1(VALU_DEP_3)
	v_fmac_f32_e32 v37, 0x3f5db3d7, v21
	v_add_f32_e32 v21, v7, v27
	v_sub_f32_e32 v17, v14, v41
	v_dual_add_f32 v25, v38, v36 :: v_dual_add_f32 v26, v39, v37
	s_waitcnt vmcnt(0)
	ds_store_2addr_b64 v42, v[21:22], v[25:26] offset1:36
	v_sub_f32_e32 v21, v7, v27
	v_mul_f32_e32 v7, 0xbf5db3d7, v5
	v_dual_mul_f32 v5, -0.5, v5 :: v_dual_sub_f32 v22, v11, v35
	v_add_f32_e32 v11, v31, v14
	s_delay_alu instid0(VALU_DEP_3) | instskip(NEXT) | instid1(VALU_DEP_3)
	v_fmac_f32_e32 v7, -0.5, v3
	v_fmac_f32_e32 v5, 0x3f5db3d7, v3
	v_add_f32_e32 v3, v30, v12
	s_delay_alu instid0(VALU_DEP_4) | instskip(SKIP_1) | instid1(VALU_DEP_4)
	v_add_f32_e32 v19, v11, v41
	v_add_f32_e32 v11, v24, v45
	v_dual_add_f32 v25, v28, v7 :: v_dual_add_f32 v26, v29, v5
	v_add_f32_e32 v15, v2, v23
	ds_store_2addr_b64 v42, v[25:26], v[21:22] offset0:72 offset1:108
	v_dual_sub_f32 v22, v29, v5 :: v_dual_add_f32 v5, v12, v40
	v_sub_f32_e32 v21, v28, v7
	v_dual_sub_f32 v25, v38, v36 :: v_dual_sub_f32 v26, v39, v37
	s_delay_alu instid0(VALU_DEP_3)
	v_fma_f32 v5, -0.5, v5, v30
	scratch_load_b32 v30, off, off offset:104 ; 4-byte Folded Reload
	ds_store_2addr_b64 v42, v[25:26], v[21:22] offset0:144 offset1:180
	v_dual_sub_f32 v21, v23, v44 :: v_dual_fmamk_f32 v28, v17, 0xbf5db3d7, v5
	v_fmac_f32_e32 v5, 0x3f5db3d7, v17
	v_dual_sub_f32 v7, v12, v40 :: v_dual_add_f32 v12, v14, v41
	v_add_f32_e32 v14, v4, v24
	v_dual_fmac_f32 v4, -0.5, v11 :: v_dual_add_f32 v11, v23, v44
	v_sub_f32_e32 v23, v24, v45
	s_delay_alu instid0(VALU_DEP_4)
	v_fma_f32 v27, -0.5, v12, v31
	v_add_f32_e32 v3, v3, v40
	v_add_f32_e32 v22, v15, v44
	v_fmac_f32_e32 v2, -0.5, v11
	v_dual_fmamk_f32 v11, v21, 0x3f5db3d7, v4 :: v_dual_add_f32 v24, v14, v45
	v_fmamk_f32 v29, v7, 0x3f5db3d7, v27
	v_dual_fmac_f32 v4, 0xbf5db3d7, v21 :: v_dual_fmac_f32 v27, 0xbf5db3d7, v7
	s_delay_alu instid0(VALU_DEP_3) | instskip(SKIP_4) | instid1(VALU_DEP_4)
	v_mul_f32_e32 v25, 0xbf5db3d7, v11
	v_dual_mul_f32 v26, 0.5, v11 :: v_dual_fmamk_f32 v11, v23, 0xbf5db3d7, v2
	v_add_f32_e32 v12, v19, v24
	v_fmac_f32_e32 v2, 0x3f5db3d7, v23
	v_mul_f32_e32 v7, 0xbf5db3d7, v4
	v_fmac_f32_e32 v25, 0.5, v11
	v_dual_fmac_f32 v26, 0x3f5db3d7, v11 :: v_dual_add_f32 v11, v3, v22
	s_delay_alu instid0(VALU_DEP_2) | instskip(NEXT) | instid1(VALU_DEP_2)
	v_dual_fmac_f32 v7, -0.5, v2 :: v_dual_add_f32 v14, v28, v25
	v_add_f32_e32 v15, v29, v26
	s_waitcnt vmcnt(0)
	ds_store_2addr_b64 v30, v[11:12], v[14:15] offset1:36
	v_sub_f32_e32 v12, v19, v24
	scratch_load_b32 v19, off, off offset:116 ; 4-byte Folded Reload
	v_dual_mul_f32 v14, -0.5, v4 :: v_dual_sub_f32 v11, v3, v22
	v_sub_f32_e32 v4, v5, v7
	s_delay_alu instid0(VALU_DEP_2) | instskip(NEXT) | instid1(VALU_DEP_1)
	v_fmac_f32_e32 v14, 0x3f5db3d7, v2
	v_dual_add_f32 v2, v5, v7 :: v_dual_add_f32 v3, v27, v14
	v_sub_f32_e32 v5, v27, v14
	ds_store_2addr_b64 v30, v[2:3], v[11:12] offset0:72 offset1:108
	v_dual_sub_f32 v2, v28, v25 :: v_dual_sub_f32 v3, v29, v26
	ds_store_2addr_b64 v30, v[2:3], v[4:5] offset0:144 offset1:180
	v_add_f32_e32 v3, v33, v8
	v_add_f32_e32 v2, v8, v16
	v_dual_add_f32 v4, v1, v10 :: v_dual_add_f32 v5, v0, v9
	v_sub_f32_e32 v8, v8, v16
	s_delay_alu instid0(VALU_DEP_4) | instskip(SKIP_4) | instid1(VALU_DEP_4)
	v_add_f32_e32 v11, v3, v16
	v_add_f32_e32 v3, v10, v20
	v_fmac_f32_e32 v33, -0.5, v2
	v_add_f32_e32 v2, v32, v6
	v_sub_f32_e32 v10, v10, v20
	v_dual_add_f32 v12, v5, v18 :: v_dual_fmac_f32 v1, -0.5, v3
	v_add_f32_e32 v3, v9, v18
	v_sub_f32_e32 v9, v9, v18
	v_add_f32_e32 v7, v2, v13
	v_add_f32_e32 v2, v6, v13
	v_sub_f32_e32 v6, v6, v13
	s_delay_alu instid0(VALU_DEP_4) | instskip(SKIP_1) | instid1(VALU_DEP_4)
	v_dual_fmac_f32 v0, -0.5, v3 :: v_dual_fmamk_f32 v3, v9, 0x3f5db3d7, v1
	v_add_f32_e32 v13, v4, v20
	v_fma_f32 v16, -0.5, v2, v32
	s_delay_alu instid0(VALU_DEP_4)
	v_fmamk_f32 v18, v6, 0x3f5db3d7, v33
	v_add_f32_e32 v2, v7, v12
	v_mul_f32_e32 v14, 0xbf5db3d7, v3
	v_mul_f32_e32 v15, 0.5, v3
	v_fmamk_f32 v3, v10, 0xbf5db3d7, v0
	v_fmamk_f32 v17, v8, 0xbf5db3d7, v16
	v_fmac_f32_e32 v1, 0xbf5db3d7, v9
	v_fmac_f32_e32 v0, 0x3f5db3d7, v10
	;; [unrolled: 1-line block ×3, first 2 shown]
	v_fmac_f32_e32 v14, 0.5, v3
	v_fmac_f32_e32 v15, 0x3f5db3d7, v3
	v_add_f32_e32 v3, v11, v13
	v_fmac_f32_e32 v33, 0xbf5db3d7, v6
	s_delay_alu instid0(VALU_DEP_3) | instskip(SKIP_4) | instid1(VALU_DEP_2)
	v_dual_add_f32 v4, v17, v14 :: v_dual_add_f32 v5, v18, v15
	s_waitcnt vmcnt(0)
	ds_store_2addr_b64 v19, v[2:3], v[4:5] offset1:36
	v_mul_f32_e32 v4, 0xbf5db3d7, v1
	v_dual_mul_f32 v5, -0.5, v1 :: v_dual_sub_f32 v2, v7, v12
	v_dual_sub_f32 v3, v11, v13 :: v_dual_fmac_f32 v4, -0.5, v0
	s_delay_alu instid0(VALU_DEP_2) | instskip(NEXT) | instid1(VALU_DEP_1)
	v_fmac_f32_e32 v5, 0x3f5db3d7, v0
	v_dual_add_f32 v0, v16, v4 :: v_dual_add_f32 v1, v33, v5
	ds_store_2addr_b64 v19, v[0:1], v[2:3] offset0:72 offset1:108
	v_dual_sub_f32 v1, v33, v5 :: v_dual_sub_f32 v0, v16, v4
	v_dual_sub_f32 v2, v17, v14 :: v_dual_sub_f32 v3, v18, v15
	ds_store_2addr_b64 v19, v[2:3], v[0:1] offset0:144 offset1:180
	s_waitcnt lgkmcnt(0)
	s_barrier
	buffer_gl0_inv
	ds_load_2addr_b64 v[0:3], v249 offset0:96 offset1:240
	ds_load_2addr_b64 v[4:7], v157 offset0:64 offset1:208
	s_waitcnt lgkmcnt(1)
	v_mul_f32_e32 v8, v65, v1
	v_mul_f32_e32 v18, v53, v3
	s_waitcnt lgkmcnt(0)
	v_mul_f32_e32 v10, v67, v5
	v_mul_f32_e32 v20, v55, v7
	v_fmac_f32_e32 v8, v64, v0
	v_mul_f32_e32 v0, v65, v0
	v_fmac_f32_e32 v18, v52, v2
	v_fmac_f32_e32 v10, v66, v4
	;; [unrolled: 1-line block ×3, first 2 shown]
	s_delay_alu instid0(VALU_DEP_4) | instskip(SKIP_1) | instid1(VALU_DEP_1)
	v_fma_f32 v9, v64, v1, -v0
	v_mul_f32_e32 v0, v67, v4
	v_fma_f32 v11, v66, v5, -v0
	v_mul_f32_e32 v0, v53, v2
	s_delay_alu instid0(VALU_DEP_1) | instskip(SKIP_1) | instid1(VALU_DEP_1)
	v_fma_f32 v19, v52, v3, -v0
	v_mul_f32_e32 v0, v55, v6
	v_fma_f32 v21, v54, v7, -v0
	ds_load_2addr_b64 v[0:3], v156 offset1:144
	ds_load_2addr_b64 v[4:7], v243 offset0:96 offset1:240
	s_waitcnt lgkmcnt(1)
	v_mul_f32_e32 v22, v77, v1
	v_mul_f32_e32 v26, v69, v3
	s_waitcnt lgkmcnt(0)
	v_mul_f32_e32 v24, v79, v5
	v_mul_f32_e32 v28, v71, v7
	v_fmac_f32_e32 v22, v76, v0
	v_mul_f32_e32 v0, v77, v0
	v_fmac_f32_e32 v26, v68, v2
	v_fmac_f32_e32 v24, v78, v4
	;; [unrolled: 1-line block ×3, first 2 shown]
	s_delay_alu instid0(VALU_DEP_4) | instskip(SKIP_1) | instid1(VALU_DEP_1)
	v_fma_f32 v23, v76, v1, -v0
	v_mul_f32_e32 v0, v79, v4
	v_fma_f32 v25, v78, v5, -v0
	v_mul_f32_e32 v0, v69, v2
	s_delay_alu instid0(VALU_DEP_1) | instskip(SKIP_1) | instid1(VALU_DEP_1)
	v_fma_f32 v27, v68, v3, -v0
	v_mul_f32_e32 v0, v71, v6
	v_fma_f32 v29, v70, v7, -v0
	ds_load_2addr_b64 v[0:3], v246 offset0:32 offset1:176
	ds_load_2addr_b64 v[4:7], v159 offset1:144
	s_waitcnt lgkmcnt(1)
	v_mul_f32_e32 v30, v85, v1
	v_mul_f32_e32 v34, v81, v3
	s_waitcnt lgkmcnt(0)
	v_mul_f32_e32 v32, v87, v5
	v_mul_f32_e32 v36, v83, v7
	v_fmac_f32_e32 v30, v84, v0
	v_mul_f32_e32 v0, v85, v0
	v_fmac_f32_e32 v34, v80, v2
	v_fmac_f32_e32 v32, v86, v4
	;; [unrolled: 1-line block ×3, first 2 shown]
	s_delay_alu instid0(VALU_DEP_4) | instskip(SKIP_1) | instid1(VALU_DEP_1)
	v_fma_f32 v31, v84, v1, -v0
	v_mul_f32_e32 v0, v87, v4
	v_fma_f32 v33, v86, v5, -v0
	v_mul_f32_e32 v0, v81, v2
	s_delay_alu instid0(VALU_DEP_1) | instskip(SKIP_1) | instid1(VALU_DEP_1)
	v_fma_f32 v35, v80, v3, -v0
	v_mul_f32_e32 v0, v83, v6
	v_fma_f32 v37, v82, v7, -v0
	ds_load_2addr_b64 v[0:3], v245 offset0:32 offset1:176
	s_waitcnt lgkmcnt(0)
	v_mul_f32_e32 v4, v174, v1
	v_mul_f32_e32 v38, v176, v3
	s_delay_alu instid0(VALU_DEP_2) | instskip(SKIP_1) | instid1(VALU_DEP_3)
	v_fmac_f32_e32 v4, v173, v0
	v_mul_f32_e32 v0, v174, v0
	v_fmac_f32_e32 v38, v175, v2
	s_delay_alu instid0(VALU_DEP_3) | instskip(NEXT) | instid1(VALU_DEP_3)
	v_sub_f32_e32 v4, v8, v4
	v_fma_f32 v5, v173, v1, -v0
	v_mul_f32_e32 v0, v176, v2
	s_delay_alu instid0(VALU_DEP_3) | instskip(NEXT) | instid1(VALU_DEP_3)
	v_fma_f32 v8, v8, 2.0, -v4
	v_sub_f32_e32 v5, v9, v5
	s_delay_alu instid0(VALU_DEP_3)
	v_fma_f32 v39, v175, v3, -v0
	ds_load_2addr_b64 v[0:3], v158 offset0:64 offset1:208
	v_fma_f32 v9, v9, 2.0, -v5
	s_waitcnt lgkmcnt(0)
	v_mul_f32_e32 v40, v178, v1
	v_mul_f32_e32 v42, v180, v3
	s_delay_alu instid0(VALU_DEP_2) | instskip(SKIP_1) | instid1(VALU_DEP_3)
	v_fmac_f32_e32 v40, v177, v0
	v_mul_f32_e32 v0, v178, v0
	v_fmac_f32_e32 v42, v179, v2
	s_delay_alu instid0(VALU_DEP_2) | instskip(SKIP_1) | instid1(VALU_DEP_1)
	v_fma_f32 v41, v177, v1, -v0
	v_mul_f32_e32 v0, v180, v2
	v_fma_f32 v43, v179, v3, -v0
	ds_load_2addr_b64 v[0:3], v244 offset0:96 offset1:240
	s_waitcnt lgkmcnt(0)
	v_mul_f32_e32 v44, v186, v1
	v_mul_f32_e32 v46, v188, v3
	s_delay_alu instid0(VALU_DEP_2) | instskip(SKIP_1) | instid1(VALU_DEP_3)
	v_fmac_f32_e32 v44, v185, v0
	v_mul_f32_e32 v0, v186, v0
	v_fmac_f32_e32 v46, v187, v2
	s_delay_alu instid0(VALU_DEP_2) | instskip(SKIP_1) | instid1(VALU_DEP_1)
	v_fma_f32 v45, v185, v1, -v0
	v_mul_f32_e32 v0, v188, v2
	v_fma_f32 v47, v187, v3, -v0
	ds_load_2addr_b64 v[0:3], v203 offset1:144
	s_waitcnt lgkmcnt(0)
	v_dual_sub_f32 v6, v0, v10 :: v_dual_sub_f32 v7, v1, v11
	s_delay_alu instid0(VALU_DEP_1) | instskip(NEXT) | instid1(VALU_DEP_2)
	v_fma_f32 v10, v0, 2.0, -v6
	v_fma_f32 v11, v1, 2.0, -v7
	v_dual_add_f32 v12, v6, v5 :: v_dual_sub_f32 v13, v7, v4
	s_delay_alu instid0(VALU_DEP_2) | instskip(NEXT) | instid1(VALU_DEP_2)
	v_dual_sub_f32 v0, v10, v8 :: v_dual_sub_f32 v1, v11, v9
	v_fma_f32 v16, v6, 2.0, -v12
	s_delay_alu instid0(VALU_DEP_3) | instskip(NEXT) | instid1(VALU_DEP_3)
	v_fma_f32 v17, v7, 2.0, -v13
	v_fma_f32 v14, v10, 2.0, -v0
	s_delay_alu instid0(VALU_DEP_4)
	v_fma_f32 v15, v11, 2.0, -v1
	ds_load_2addr_b64 v[4:7], v255 offset0:32 offset1:176
	ds_load_2addr_b64 v[8:11], v162 offset0:64 offset1:208
	s_waitcnt lgkmcnt(0)
	s_barrier
	buffer_gl0_inv
	ds_store_2addr_b64 v203, v[14:15], v[16:17] offset1:216
	scratch_load_b32 v16, off, off offset:120 ; 4-byte Folded Reload
	v_dual_sub_f32 v15, v3, v21 :: v_dual_add_nc_u32 v14, 0xd00, v203
	ds_store_2addr_b64 v14, v[0:1], v[12:13] offset0:16 offset1:232
	v_sub_f32_e32 v14, v2, v20
	v_fma_f32 v13, v3, 2.0, -v15
	v_sub_f32_e32 v3, v18, v38
	s_delay_alu instid0(VALU_DEP_3) | instskip(SKIP_1) | instid1(VALU_DEP_3)
	v_fma_f32 v12, v2, 2.0, -v14
	v_sub_f32_e32 v2, v19, v39
	v_fma_f32 v0, v18, 2.0, -v3
	v_sub_f32_e32 v3, v15, v3
	s_delay_alu instid0(VALU_DEP_3) | instskip(NEXT) | instid1(VALU_DEP_3)
	v_fma_f32 v1, v19, 2.0, -v2
	v_sub_f32_e32 v0, v12, v0
	v_add_f32_e32 v2, v14, v2
	s_delay_alu instid0(VALU_DEP_4) | instskip(NEXT) | instid1(VALU_DEP_4)
	v_fma_f32 v15, v15, 2.0, -v3
	v_sub_f32_e32 v1, v13, v1
	s_delay_alu instid0(VALU_DEP_4) | instskip(NEXT) | instid1(VALU_DEP_4)
	v_fma_f32 v12, v12, 2.0, -v0
	v_fma_f32 v14, v14, 2.0, -v2
	s_delay_alu instid0(VALU_DEP_3) | instskip(SKIP_4) | instid1(VALU_DEP_1)
	v_fma_f32 v13, v13, 2.0, -v1
	s_waitcnt vmcnt(0)
	ds_store_2addr_b64 v16, v[12:13], v[14:15] offset1:216
	scratch_load_b32 v12, off, off offset:124 ; 4-byte Folded Reload
	v_dual_sub_f32 v13, v5, v25 :: v_dual_add_nc_u32 v14, 0x1d00, v203
	v_fma_f32 v5, v5, 2.0, -v13
	s_waitcnt vmcnt(0)
	ds_store_2addr_b64 v12, v[0:1], v[2:3] offset0:16 offset1:232
	v_dual_sub_f32 v3, v22, v40 :: v_dual_sub_f32 v2, v23, v41
	v_sub_f32_e32 v12, v4, v24
	s_delay_alu instid0(VALU_DEP_2) | instskip(NEXT) | instid1(VALU_DEP_3)
	v_fma_f32 v0, v22, 2.0, -v3
	v_fma_f32 v1, v23, 2.0, -v2
	s_delay_alu instid0(VALU_DEP_3) | instskip(SKIP_1) | instid1(VALU_DEP_2)
	v_fma_f32 v4, v4, 2.0, -v12
	v_dual_add_f32 v2, v12, v2 :: v_dual_sub_f32 v3, v13, v3
	v_dual_sub_f32 v1, v5, v1 :: v_dual_sub_f32 v0, v4, v0
	s_delay_alu instid0(VALU_DEP_2) | instskip(NEXT) | instid1(VALU_DEP_3)
	v_fma_f32 v12, v12, 2.0, -v2
	v_fma_f32 v13, v13, 2.0, -v3
	s_delay_alu instid0(VALU_DEP_3) | instskip(NEXT) | instid1(VALU_DEP_4)
	v_fma_f32 v5, v5, 2.0, -v1
	v_fma_f32 v4, v4, 2.0, -v0
	ds_store_2addr_b64 v14, v[4:5], v[12:13] offset0:8 offset1:224
	v_add_nc_u32_e32 v4, 0x2a00, v203
	v_dual_sub_f32 v12, v6, v28 :: v_dual_sub_f32 v13, v7, v29
	ds_store_2addr_b64 v4, v[0:1], v[2:3] offset0:24 offset1:240
	v_sub_f32_e32 v2, v27, v43
	v_fma_f32 v4, v6, 2.0, -v12
	v_sub_f32_e32 v3, v26, v42
	v_fma_f32 v5, v7, 2.0, -v13
	s_delay_alu instid0(VALU_DEP_4) | instskip(SKIP_1) | instid1(VALU_DEP_4)
	v_fma_f32 v1, v27, 2.0, -v2
	v_add_f32_e32 v2, v12, v2
	v_fma_f32 v0, v26, 2.0, -v3
	v_sub_f32_e32 v3, v13, v3
	s_delay_alu instid0(VALU_DEP_4) | instskip(NEXT) | instid1(VALU_DEP_4)
	v_sub_f32_e32 v1, v5, v1
	v_fma_f32 v6, v12, 2.0, -v2
	scratch_load_b32 v12, off, off offset:148 ; 4-byte Folded Reload
	v_sub_f32_e32 v0, v4, v0
	v_fma_f32 v7, v13, 2.0, -v3
	v_fma_f32 v5, v5, 2.0, -v1
	s_delay_alu instid0(VALU_DEP_3) | instskip(SKIP_4) | instid1(VALU_DEP_1)
	v_fma_f32 v4, v4, 2.0, -v0
	s_waitcnt vmcnt(0)
	ds_store_2addr_b64 v12, v[4:5], v[6:7] offset1:216
	scratch_load_b32 v4, off, off offset:144 ; 4-byte Folded Reload
	v_dual_sub_f32 v6, v8, v32 :: v_dual_sub_f32 v7, v9, v33
	v_fma_f32 v5, v9, 2.0, -v7
	s_waitcnt vmcnt(0)
	ds_store_2addr_b64 v4, v[0:1], v[2:3] offset0:16 offset1:232
	v_fma_f32 v4, v8, 2.0, -v6
	scratch_load_b32 v8, off, off offset:140 ; 4-byte Folded Reload
	v_dual_sub_f32 v3, v30, v44 :: v_dual_sub_f32 v2, v31, v45
	s_delay_alu instid0(VALU_DEP_1) | instskip(NEXT) | instid1(VALU_DEP_2)
	v_fma_f32 v0, v30, 2.0, -v3
	v_fma_f32 v1, v31, 2.0, -v2
	v_dual_add_f32 v2, v6, v2 :: v_dual_sub_f32 v3, v7, v3
	s_delay_alu instid0(VALU_DEP_2) | instskip(NEXT) | instid1(VALU_DEP_2)
	v_dual_sub_f32 v0, v4, v0 :: v_dual_sub_f32 v1, v5, v1
	v_fma_f32 v6, v6, 2.0, -v2
	s_delay_alu instid0(VALU_DEP_3) | instskip(NEXT) | instid1(VALU_DEP_3)
	v_fma_f32 v7, v7, 2.0, -v3
	v_fma_f32 v4, v4, 2.0, -v0
	s_delay_alu instid0(VALU_DEP_4)
	v_fma_f32 v5, v5, 2.0, -v1
	s_waitcnt vmcnt(0)
	ds_store_2addr_b64 v8, v[4:5], v[6:7] offset1:216
	s_clause 0x1
	scratch_load_b32 v4, off, off offset:136
	scratch_load_b32 v8, off, off offset:132
	v_dual_sub_f32 v6, v10, v36 :: v_dual_sub_f32 v7, v11, v37
	s_delay_alu instid0(VALU_DEP_1) | instskip(SKIP_4) | instid1(VALU_DEP_2)
	v_fma_f32 v5, v11, 2.0, -v7
	s_waitcnt vmcnt(1)
	ds_store_2addr_b64 v4, v[0:1], v[2:3] offset0:16 offset1:232
	v_dual_sub_f32 v3, v34, v46 :: v_dual_sub_f32 v2, v35, v47
	v_fma_f32 v4, v10, 2.0, -v6
	v_fma_f32 v0, v34, 2.0, -v3
	s_delay_alu instid0(VALU_DEP_3) | instskip(SKIP_1) | instid1(VALU_DEP_2)
	v_fma_f32 v1, v35, 2.0, -v2
	v_dual_add_f32 v2, v6, v2 :: v_dual_sub_f32 v3, v7, v3
	v_dual_sub_f32 v0, v4, v0 :: v_dual_sub_f32 v1, v5, v1
	s_delay_alu instid0(VALU_DEP_2) | instskip(NEXT) | instid1(VALU_DEP_3)
	v_fma_f32 v6, v6, 2.0, -v2
	v_fma_f32 v7, v7, 2.0, -v3
	s_delay_alu instid0(VALU_DEP_3) | instskip(NEXT) | instid1(VALU_DEP_4)
	v_fma_f32 v4, v4, 2.0, -v0
	v_fma_f32 v5, v5, 2.0, -v1
	s_waitcnt vmcnt(0)
	ds_store_2addr_b64 v8, v[4:5], v[6:7] offset0:32 offset1:248
	scratch_load_b32 v4, off, off offset:128 ; 4-byte Folded Reload
	s_waitcnt vmcnt(0)
	ds_store_2addr_b64 v4, v[0:1], v[2:3] offset0:16 offset1:232
	s_waitcnt lgkmcnt(0)
	s_barrier
	buffer_gl0_inv
	ds_load_2addr_b64 v[0:3], v249 offset0:96 offset1:240
	ds_load_2addr_b64 v[4:7], v157 offset0:64 offset1:208
	s_waitcnt lgkmcnt(1)
	v_mul_f32_e32 v8, v93, v1
	s_waitcnt lgkmcnt(0)
	v_dual_mul_f32 v14, v89, v3 :: v_dual_mul_f32 v9, v95, v5
	v_mul_f32_e32 v12, v91, v7
	s_delay_alu instid0(VALU_DEP_3) | instskip(SKIP_1) | instid1(VALU_DEP_4)
	v_fmac_f32_e32 v8, v92, v0
	v_mul_f32_e32 v0, v93, v0
	v_dual_fmac_f32 v14, v88, v2 :: v_dual_fmac_f32 v9, v94, v4
	s_delay_alu instid0(VALU_DEP_4) | instskip(NEXT) | instid1(VALU_DEP_3)
	v_fmac_f32_e32 v12, v90, v6
	v_fma_f32 v10, v92, v1, -v0
	v_mul_f32_e32 v0, v95, v4
	s_delay_alu instid0(VALU_DEP_1) | instskip(SKIP_1) | instid1(VALU_DEP_1)
	v_fma_f32 v11, v94, v5, -v0
	v_mul_f32_e32 v0, v89, v2
	v_fma_f32 v15, v88, v3, -v0
	v_mul_f32_e32 v0, v91, v6
	s_delay_alu instid0(VALU_DEP_1)
	v_fma_f32 v13, v90, v7, -v0
	ds_load_2addr_b64 v[0:3], v156 offset1:144
	ds_load_2addr_b64 v[4:7], v243 offset0:96 offset1:240
	s_waitcnt lgkmcnt(1)
	v_mul_f32_e32 v18, v101, v1
	v_mul_f32_e32 v20, v97, v3
	s_waitcnt lgkmcnt(0)
	v_mul_f32_e32 v16, v103, v5
	v_mul_f32_e32 v22, v99, v7
	v_fmac_f32_e32 v18, v100, v0
	v_mul_f32_e32 v0, v101, v0
	v_fmac_f32_e32 v20, v96, v2
	v_fmac_f32_e32 v16, v102, v4
	;; [unrolled: 1-line block ×3, first 2 shown]
	s_delay_alu instid0(VALU_DEP_4) | instskip(SKIP_1) | instid1(VALU_DEP_1)
	v_fma_f32 v19, v100, v1, -v0
	v_mul_f32_e32 v0, v103, v4
	v_fma_f32 v17, v102, v5, -v0
	v_mul_f32_e32 v0, v97, v2
	s_delay_alu instid0(VALU_DEP_1) | instskip(SKIP_1) | instid1(VALU_DEP_1)
	v_fma_f32 v21, v96, v3, -v0
	v_mul_f32_e32 v0, v99, v6
	v_fma_f32 v23, v98, v7, -v0
	ds_load_2addr_b64 v[0:3], v246 offset0:32 offset1:176
	ds_load_2addr_b64 v[4:7], v159 offset1:144
	s_waitcnt lgkmcnt(1)
	v_mul_f32_e32 v24, v109, v1
	v_mul_f32_e32 v28, v105, v3
	s_waitcnt lgkmcnt(0)
	v_mul_f32_e32 v26, v111, v5
	v_mul_f32_e32 v30, v107, v7
	v_fmac_f32_e32 v24, v108, v0
	v_mul_f32_e32 v0, v109, v0
	v_fmac_f32_e32 v28, v104, v2
	v_fmac_f32_e32 v26, v110, v4
	;; [unrolled: 1-line block ×3, first 2 shown]
	s_delay_alu instid0(VALU_DEP_4) | instskip(SKIP_1) | instid1(VALU_DEP_1)
	v_fma_f32 v25, v108, v1, -v0
	v_mul_f32_e32 v0, v111, v4
	v_fma_f32 v27, v110, v5, -v0
	v_mul_f32_e32 v0, v105, v2
	s_delay_alu instid0(VALU_DEP_1) | instskip(SKIP_1) | instid1(VALU_DEP_1)
	v_fma_f32 v29, v104, v3, -v0
	v_mul_f32_e32 v0, v107, v6
	v_fma_f32 v31, v106, v7, -v0
	ds_load_2addr_b64 v[0:3], v245 offset0:32 offset1:176
	s_waitcnt lgkmcnt(0)
	v_mul_f32_e32 v4, v192, v1
	v_mul_f32_e32 v32, v190, v3
	s_delay_alu instid0(VALU_DEP_2) | instskip(SKIP_1) | instid1(VALU_DEP_3)
	v_fmac_f32_e32 v4, v191, v0
	v_mul_f32_e32 v0, v192, v0
	v_fmac_f32_e32 v32, v189, v2
	s_delay_alu instid0(VALU_DEP_2) | instskip(SKIP_1) | instid1(VALU_DEP_3)
	v_fma_f32 v5, v191, v1, -v0
	v_mul_f32_e32 v0, v190, v2
	v_sub_f32_e32 v32, v14, v32
	s_delay_alu instid0(VALU_DEP_2)
	v_fma_f32 v33, v189, v3, -v0
	ds_load_2addr_b64 v[0:3], v158 offset0:64 offset1:208
	v_sub_f32_e32 v33, v15, v33
	s_waitcnt lgkmcnt(0)
	v_mul_f32_e32 v34, v196, v1
	v_mul_f32_e32 v36, v194, v3
	s_delay_alu instid0(VALU_DEP_2) | instskip(SKIP_1) | instid1(VALU_DEP_3)
	v_fmac_f32_e32 v34, v195, v0
	v_mul_f32_e32 v0, v196, v0
	v_fmac_f32_e32 v36, v193, v2
	s_delay_alu instid0(VALU_DEP_3) | instskip(NEXT) | instid1(VALU_DEP_3)
	v_sub_f32_e32 v34, v18, v34
	v_fma_f32 v35, v195, v1, -v0
	v_mul_f32_e32 v0, v194, v2
	s_delay_alu instid0(VALU_DEP_2) | instskip(NEXT) | instid1(VALU_DEP_2)
	v_dual_sub_f32 v36, v20, v36 :: v_dual_sub_f32 v35, v19, v35
	v_fma_f32 v37, v193, v3, -v0
	ds_load_2addr_b64 v[0:3], v244 offset0:96 offset1:240
	v_sub_f32_e32 v37, v21, v37
	s_waitcnt lgkmcnt(0)
	v_mul_f32_e32 v38, v200, v1
	v_mul_f32_e32 v40, v198, v3
	s_delay_alu instid0(VALU_DEP_2) | instskip(SKIP_1) | instid1(VALU_DEP_3)
	v_fmac_f32_e32 v38, v199, v0
	v_mul_f32_e32 v0, v200, v0
	v_fmac_f32_e32 v40, v197, v2
	s_delay_alu instid0(VALU_DEP_3) | instskip(NEXT) | instid1(VALU_DEP_3)
	v_sub_f32_e32 v38, v24, v38
	v_fma_f32 v39, v199, v1, -v0
	s_delay_alu instid0(VALU_DEP_1) | instskip(NEXT) | instid1(VALU_DEP_1)
	v_dual_mul_f32 v0, v198, v2 :: v_dual_sub_f32 v39, v25, v39
	v_fma_f32 v41, v197, v3, -v0
	ds_load_2addr_b64 v[0:3], v203 offset1:144
	s_waitcnt lgkmcnt(0)
	v_dual_sub_f32 v6, v0, v9 :: v_dual_sub_f32 v7, v1, v11
	v_dual_sub_f32 v42, v2, v12 :: v_dual_sub_f32 v43, v3, v13
	s_delay_alu instid0(VALU_DEP_2) | instskip(NEXT) | instid1(VALU_DEP_3)
	v_fma_f32 v44, v0, 2.0, -v6
	v_fma_f32 v45, v1, 2.0, -v7
	v_dual_sub_f32 v0, v8, v4 :: v_dual_sub_f32 v1, v10, v5
	s_delay_alu instid0(VALU_DEP_4) | instskip(SKIP_1) | instid1(VALU_DEP_3)
	v_fma_f32 v46, v2, 2.0, -v42
	v_fma_f32 v47, v3, 2.0, -v43
	;; [unrolled: 1-line block ×3, first 2 shown]
	s_delay_alu instid0(VALU_DEP_4) | instskip(SKIP_1) | instid1(VALU_DEP_3)
	v_dual_sub_f32 v9, v7, v0 :: v_dual_add_f32 v8, v6, v1
	v_fma_f32 v0, v10, 2.0, -v1
	v_sub_f32_e32 v12, v44, v2
	s_delay_alu instid0(VALU_DEP_3) | instskip(NEXT) | instid1(VALU_DEP_4)
	v_fma_f32 v11, v7, 2.0, -v9
	v_fma_f32 v10, v6, 2.0, -v8
	s_delay_alu instid0(VALU_DEP_4)
	v_sub_f32_e32 v13, v45, v0
	ds_load_2addr_b64 v[0:3], v255 offset0:32 offset1:176
	ds_load_2addr_b64 v[4:7], v162 offset0:64 offset1:208
	ds_store_b64 v203, v[10:11] offset:6912
	ds_store_b64 v203, v[12:13] offset:13824
	;; [unrolled: 1-line block ×3, first 2 shown]
	v_fma_f32 v8, v14, 2.0, -v32
	v_fma_f32 v9, v15, 2.0, -v33
	;; [unrolled: 1-line block ×4, first 2 shown]
	v_add_nc_u32_e32 v14, 0x1e00, v203
	s_delay_alu instid0(VALU_DEP_4) | instskip(NEXT) | instid1(VALU_DEP_1)
	v_dual_sub_f32 v8, v46, v8 :: v_dual_sub_f32 v9, v47, v9
	v_fma_f32 v12, v46, 2.0, -v8
	s_delay_alu instid0(VALU_DEP_2)
	v_fma_f32 v13, v47, 2.0, -v9
	s_waitcnt lgkmcnt(4)
	v_dual_sub_f32 v22, v2, v22 :: v_dual_sub_f32 v23, v3, v23
	ds_store_2addr_b64 v203, v[10:11], v[12:13] offset1:144
	v_dual_add_f32 v10, v42, v33 :: v_dual_sub_f32 v11, v43, v32
	v_dual_sub_f32 v32, v0, v16 :: v_dual_sub_f32 v33, v1, v17
	ds_store_b64 v203, v[8:9] offset:14976
	v_fma_f32 v8, v42, 2.0, -v10
	ds_store_b64 v203, v[10:11] offset:21888
	v_fma_f32 v9, v43, 2.0, -v11
	v_dual_add_f32 v10, v32, v35 :: v_dual_sub_f32 v11, v33, v34
	s_waitcnt lgkmcnt(6)
	v_dual_sub_f32 v26, v4, v26 :: v_dual_sub_f32 v27, v5, v27
	v_add_nc_u32_e32 v42, 0x2800, v203
	s_delay_alu instid0(VALU_DEP_3) | instskip(SKIP_1) | instid1(VALU_DEP_4)
	v_fma_f32 v12, v32, 2.0, -v10
	v_fma_f32 v13, v33, 2.0, -v11
	;; [unrolled: 1-line block ×4, first 2 shown]
	ds_store_2addr_b64 v14, v[8:9], v[12:13] offset0:48 offset1:192
	v_dual_add_f32 v8, v22, v37 :: v_dual_sub_f32 v9, v23, v36
	v_dual_add_f32 v12, v26, v39 :: v_dual_sub_f32 v13, v27, v38
	s_delay_alu instid0(VALU_DEP_2) | instskip(NEXT) | instid1(VALU_DEP_3)
	v_fma_f32 v14, v22, 2.0, -v8
	v_fma_f32 v15, v23, 2.0, -v9
	s_delay_alu instid0(VALU_DEP_3) | instskip(NEXT) | instid1(VALU_DEP_4)
	v_fma_f32 v16, v26, 2.0, -v12
	v_fma_f32 v17, v27, 2.0, -v13
	ds_store_2addr_b64 v42, v[14:15], v[16:17] offset0:16 offset1:160
	v_fma_f32 v14, v0, 2.0, -v32
	v_fma_f32 v15, v1, 2.0, -v33
	;; [unrolled: 1-line block ×8, first 2 shown]
	s_delay_alu instid0(VALU_DEP_3) | instskip(NEXT) | instid1(VALU_DEP_2)
	v_dual_sub_f32 v0, v14, v0 :: v_dual_sub_f32 v1, v15, v1
	v_dual_sub_f32 v2, v16, v2 :: v_dual_sub_f32 v3, v17, v3
	s_delay_alu instid0(VALU_DEP_2) | instskip(NEXT) | instid1(VALU_DEP_3)
	v_fma_f32 v14, v14, 2.0, -v0
	v_fma_f32 v15, v15, 2.0, -v1
	s_delay_alu instid0(VALU_DEP_3) | instskip(NEXT) | instid1(VALU_DEP_4)
	v_fma_f32 v16, v16, 2.0, -v2
	v_fma_f32 v17, v17, 2.0, -v3
	ds_store_2addr_b64 v255, v[14:15], v[16:17] offset0:32 offset1:176
	ds_store_2addr_b64 v243, v[0:1], v[2:3] offset0:96 offset1:240
	;; [unrolled: 1-line block ×3, first 2 shown]
	v_dual_sub_f32 v8, v6, v30 :: v_dual_sub_f32 v9, v7, v31
	v_dual_sub_f32 v10, v28, v40 :: v_dual_sub_f32 v11, v29, v41
	v_fma_f32 v0, v24, 2.0, -v38
	s_delay_alu instid0(VALU_DEP_3) | instskip(NEXT) | instid1(VALU_DEP_4)
	v_fma_f32 v6, v6, 2.0, -v8
	v_fma_f32 v7, v7, 2.0, -v9
	;; [unrolled: 1-line block ×5, first 2 shown]
	s_delay_alu instid0(VALU_DEP_3) | instskip(NEXT) | instid1(VALU_DEP_2)
	v_dual_sub_f32 v0, v4, v0 :: v_dual_sub_f32 v1, v5, v1
	v_dual_sub_f32 v2, v6, v2 :: v_dual_sub_f32 v3, v7, v3
	s_delay_alu instid0(VALU_DEP_2) | instskip(NEXT) | instid1(VALU_DEP_3)
	v_fma_f32 v4, v4, 2.0, -v0
	v_fma_f32 v5, v5, 2.0, -v1
	s_delay_alu instid0(VALU_DEP_3) | instskip(NEXT) | instid1(VALU_DEP_4)
	v_fma_f32 v6, v6, 2.0, -v2
	v_fma_f32 v7, v7, 2.0, -v3
	ds_store_2addr_b64 v162, v[4:5], v[6:7] offset0:64 offset1:208
	ds_store_2addr_b64 v159, v[0:1], v[2:3] offset1:144
	v_dual_add_f32 v0, v8, v11 :: v_dual_sub_f32 v1, v9, v10
	ds_store_2addr_b64 v244, v[12:13], v[0:1] offset0:96 offset1:240
	v_fma_f32 v0, v8, 2.0, -v0
	v_fma_f32 v1, v9, 2.0, -v1
	ds_store_b64 v203, v[0:1] offset:12672
	s_waitcnt lgkmcnt(0)
	s_barrier
	buffer_gl0_inv
	s_clause 0x2
	scratch_load_b64 v[5:6], off, off offset:60
	scratch_load_b64 v[9:10], off, off offset:44
	;; [unrolled: 1-line block ×3, first 2 shown]
	ds_load_2addr_b64 v[1:4], v203 offset1:144
	ds_load_2addr_b64 v[11:14], v156 offset1:144
	;; [unrolled: 1-line block ×3, first 2 shown]
	s_clause 0x1
	scratch_load_b32 v23, off, off offset:76
	scratch_load_b32 v56, off, off
	s_waitcnt vmcnt(4) lgkmcnt(2)
	v_mul_f32_e32 v0, v6, v2
	s_waitcnt vmcnt(2) lgkmcnt(0)
	s_delay_alu instid0(VALU_DEP_1) | instskip(SKIP_1) | instid1(VALU_DEP_2)
	v_dual_mul_f32 v25, v22, v18 :: v_dual_fmac_f32 v0, v5, v1
	v_mul_f32_e32 v1, v6, v1
	v_fmac_f32_e32 v25, v21, v17
	s_delay_alu instid0(VALU_DEP_2) | instskip(SKIP_1) | instid1(VALU_DEP_1)
	v_fma_f32 v1, v5, v2, -v1
	v_mul_f32_e32 v2, v228, v4
	v_fmac_f32_e32 v2, v227, v3
	v_mul_f32_e32 v3, v228, v3
	s_delay_alu instid0(VALU_DEP_1) | instskip(SKIP_3) | instid1(VALU_DEP_1)
	v_fma_f32 v7, v227, v4, -v3
	ds_load_2addr_b64 v[3:6], v162 offset0:64 offset1:208
	s_waitcnt lgkmcnt(0)
	v_mul_f32_e32 v8, v10, v4
	v_fmac_f32_e32 v8, v9, v3
	v_dual_mul_f32 v3, v10, v3 :: v_dual_mul_f32 v10, v207, v12
	s_delay_alu instid0(VALU_DEP_1) | instskip(SKIP_2) | instid1(VALU_DEP_2)
	v_fma_f32 v9, v9, v4, -v3
	v_mul_f32_e32 v3, v209, v6
	v_mul_f32_e32 v4, v209, v5
	v_dual_fmac_f32 v10, v206, v11 :: v_dual_fmac_f32 v3, v208, v5
	v_mul_f32_e32 v5, v207, v11
	s_delay_alu instid0(VALU_DEP_3) | instskip(SKIP_1) | instid1(VALU_DEP_3)
	v_fma_f32 v4, v208, v6, -v4
	v_mul_f32_e32 v6, v213, v13
	v_fma_f32 v11, v206, v12, -v5
	v_mul_f32_e32 v5, v213, v14
	s_delay_alu instid0(VALU_DEP_3) | instskip(NEXT) | instid1(VALU_DEP_2)
	v_fma_f32 v6, v212, v14, -v6
	v_fmac_f32_e32 v5, v212, v13
	ds_load_2addr_b64 v[13:16], v157 offset0:64 offset1:208
	s_waitcnt lgkmcnt(0)
	v_mul_f32_e32 v12, v211, v14
	s_delay_alu instid0(VALU_DEP_1) | instskip(SKIP_1) | instid1(VALU_DEP_1)
	v_fmac_f32_e32 v12, v210, v13
	v_mul_f32_e32 v13, v211, v13
	v_fma_f32 v13, v210, v14, -v13
	v_mul_f32_e32 v14, v224, v16
	s_delay_alu instid0(VALU_DEP_1) | instskip(SKIP_1) | instid1(VALU_DEP_1)
	v_fmac_f32_e32 v14, v223, v15
	v_mul_f32_e32 v15, v224, v15
	v_fma_f32 v16, v223, v16, -v15
	v_mul_f32_e32 v15, v22, v17
	v_mul_f32_e32 v17, v222, v19
	s_delay_alu instid0(VALU_DEP_2) | instskip(SKIP_3) | instid1(VALU_DEP_2)
	v_fma_f32 v26, v21, v18, -v15
	scratch_load_b64 v[21:22], off, off offset:12 ; 8-byte Folded Reload
	v_mul_f32_e32 v15, v222, v20
	v_fma_f32 v27, v221, v20, -v17
	v_fmac_f32_e32 v15, v221, v19
	ds_load_2addr_b64 v[17:20], v158 offset0:64 offset1:208
	s_waitcnt lgkmcnt(0)
	v_mul_f32_e32 v28, v226, v18
	v_mul_f32_e32 v30, v215, v20
	s_delay_alu instid0(VALU_DEP_2) | instskip(SKIP_1) | instid1(VALU_DEP_3)
	v_fmac_f32_e32 v28, v225, v17
	v_mul_f32_e32 v17, v226, v17
	v_fmac_f32_e32 v30, v214, v19
	s_delay_alu instid0(VALU_DEP_2) | instskip(SKIP_1) | instid1(VALU_DEP_1)
	v_fma_f32 v29, v225, v18, -v17
	v_mul_f32_e32 v17, v215, v19
	v_fma_f32 v31, v214, v20, -v17
	ds_load_2addr_b64 v[17:20], v255 offset0:32 offset1:176
	s_waitcnt lgkmcnt(0)
	v_mul_f32_e32 v32, v230, v18
	s_delay_alu instid0(VALU_DEP_1) | instskip(SKIP_1) | instid1(VALU_DEP_1)
	v_fmac_f32_e32 v32, v229, v17
	v_mul_f32_e32 v17, v230, v17
	v_fma_f32 v33, v229, v18, -v17
	s_waitcnt vmcnt(0)
	v_mul_f32_e32 v34, v22, v20
	v_mul_f32_e32 v17, v22, v19
	s_delay_alu instid0(VALU_DEP_2) | instskip(NEXT) | instid1(VALU_DEP_2)
	v_fmac_f32_e32 v34, v21, v19
	v_fma_f32 v35, v21, v20, -v17
	scratch_load_b64 v[21:22], off, off offset:52 ; 8-byte Folded Reload
	ds_load_2addr_b64 v[17:20], v249 offset0:96 offset1:240
	s_waitcnt lgkmcnt(0)
	v_mul_f32_e32 v36, v240, v18
	s_delay_alu instid0(VALU_DEP_1) | instskip(SKIP_1) | instid1(VALU_DEP_1)
	v_fmac_f32_e32 v36, v239, v17
	v_mul_f32_e32 v17, v240, v17
	v_fma_f32 v37, v239, v18, -v17
	s_waitcnt vmcnt(0)
	v_mul_f32_e32 v38, v22, v20
	v_mul_f32_e32 v17, v22, v19
	s_delay_alu instid0(VALU_DEP_2) | instskip(NEXT) | instid1(VALU_DEP_2)
	v_fmac_f32_e32 v38, v21, v19
	v_fma_f32 v39, v21, v20, -v17
	scratch_load_b64 v[21:22], off, off offset:68 ; 8-byte Folded Reload
	ds_load_2addr_b64 v[17:20], v246 offset0:32 offset1:176
	s_waitcnt lgkmcnt(0)
	v_mul_f32_e32 v42, v254, v20
	s_delay_alu instid0(VALU_DEP_1) | instskip(SKIP_2) | instid1(VALU_DEP_1)
	v_fmac_f32_e32 v42, v253, v19
	s_waitcnt vmcnt(0)
	v_mul_f32_e32 v40, v22, v18
	v_fmac_f32_e32 v40, v21, v17
	v_mul_f32_e32 v17, v22, v17
	s_delay_alu instid0(VALU_DEP_1) | instskip(SKIP_2) | instid1(VALU_DEP_1)
	v_fma_f32 v41, v21, v18, -v17
	scratch_load_b64 v[21:22], off, off offset:152 ; 8-byte Folded Reload
	v_mul_f32_e32 v17, v254, v19
	v_fma_f32 v43, v253, v20, -v17
	ds_load_2addr_b64 v[17:20], v243 offset0:96 offset1:240
	s_waitcnt lgkmcnt(0)
	v_mul_f32_e32 v46, v242, v20
	s_delay_alu instid0(VALU_DEP_1) | instskip(SKIP_2) | instid1(VALU_DEP_1)
	v_fmac_f32_e32 v46, v241, v19
	s_waitcnt vmcnt(0)
	v_mul_f32_e32 v44, v22, v18
	v_fmac_f32_e32 v44, v21, v17
	v_mul_f32_e32 v17, v22, v17
	s_delay_alu instid0(VALU_DEP_1) | instskip(SKIP_2) | instid1(VALU_DEP_1)
	v_fma_f32 v45, v21, v18, -v17
	scratch_load_b64 v[21:22], off, off offset:4 ; 8-byte Folded Reload
	v_mul_f32_e32 v17, v242, v19
	v_fma_f32 v47, v241, v20, -v17
	ds_load_2addr_b64 v[17:20], v245 offset0:32 offset1:176
	s_waitcnt vmcnt(0) lgkmcnt(0)
	v_mul_f32_e32 v48, v22, v18
	s_delay_alu instid0(VALU_DEP_1) | instskip(SKIP_1) | instid1(VALU_DEP_1)
	v_fmac_f32_e32 v48, v21, v17
	v_mul_f32_e32 v17, v22, v17
	v_fma_f32 v49, v21, v18, -v17
	scratch_load_b64 v[21:22], off, off offset:28 ; 8-byte Folded Reload
	s_waitcnt vmcnt(0)
	v_mul_f32_e32 v50, v22, v20
	v_mul_f32_e32 v17, v22, v19
	s_delay_alu instid0(VALU_DEP_2) | instskip(NEXT) | instid1(VALU_DEP_2)
	v_fmac_f32_e32 v50, v21, v19
	v_fma_f32 v51, v21, v20, -v17
	scratch_load_b64 v[21:22], off, off offset:20 ; 8-byte Folded Reload
	ds_load_2addr_b64 v[17:20], v244 offset0:96 offset1:240
	s_waitcnt lgkmcnt(0)
	v_mul_f32_e32 v52, v234, v18
	v_mul_f32_e32 v54, v232, v20
	s_delay_alu instid0(VALU_DEP_2) | instskip(NEXT) | instid1(VALU_DEP_2)
	v_fmac_f32_e32 v52, v233, v17
	v_dual_mul_f32 v17, v234, v17 :: v_dual_fmac_f32 v54, v231, v19
	s_delay_alu instid0(VALU_DEP_1) | instskip(SKIP_1) | instid1(VALU_DEP_1)
	v_fma_f32 v53, v233, v18, -v17
	v_mul_f32_e32 v17, v232, v19
	v_fma_f32 v55, v231, v20, -v17
	s_waitcnt vmcnt(0)
	v_mad_u64_u32 v[17:18], null, s6, v21, 0
	s_mul_hi_u32 s6, s4, 0xffffaa80
	s_delay_alu instid0(SALU_CYCLE_1) | instskip(NEXT) | instid1(VALU_DEP_1)
	s_sub_i32 s6, s6, s4
	v_mad_u64_u32 v[19:20], null, s7, v21, v[18:19]
	s_delay_alu instid0(VALU_DEP_1) | instskip(SKIP_1) | instid1(VALU_DEP_2)
	v_mov_b32_e32 v18, v19
	v_mad_u64_u32 v[19:20], null, s4, v23, 0
	v_lshlrev_b64 v[17:18], 3, v[17:18]
	s_delay_alu instid0(VALU_DEP_2) | instskip(NEXT) | instid1(VALU_DEP_1)
	v_mad_u64_u32 v[21:22], null, s5, v23, v[20:21]
	v_mov_b32_e32 v20, v21
	v_mad_u64_u32 v[21:22], null, s4, v56, 0
	s_delay_alu instid0(VALU_DEP_1) | instskip(NEXT) | instid1(VALU_DEP_1)
	v_mad_u64_u32 v[23:24], null, s5, v56, v[22:23]
	v_mov_b32_e32 v22, v23
	v_add_co_u32 v23, vcc_lo, s0, v17
	v_add_co_ci_u32_e32 v24, vcc_lo, s1, v18, vcc_lo
	v_lshlrev_b64 v[17:18], 3, v[19:20]
	s_delay_alu instid0(VALU_DEP_4)
	v_lshlrev_b64 v[19:20], 3, v[21:22]
	v_cvt_f64_f32_e32 v[21:22], v0
	v_cvt_f64_f32_e32 v[0:1], v1
	s_mov_b32 s0, 0xbda12f68
	s_mov_b32 s1, 0x3f32f684
	v_add_co_u32 v17, vcc_lo, v23, v17
	v_add_co_ci_u32_e32 v18, vcc_lo, v24, v18, vcc_lo
	v_add_co_u32 v19, vcc_lo, v23, v19
	v_add_co_ci_u32_e32 v20, vcc_lo, v24, v20, vcc_lo
	v_cvt_f64_f32_e32 v[23:24], v26
	v_mul_f64 v[21:22], v[21:22], s[0:1]
	v_mul_f64 v[0:1], v[0:1], s[0:1]
	s_delay_alu instid0(VALU_DEP_3) | instskip(NEXT) | instid1(VALU_DEP_3)
	v_mul_f64 v[23:24], v[23:24], s[0:1]
	v_cvt_f32_f64_e32 v21, v[21:22]
	s_delay_alu instid0(VALU_DEP_3)
	v_cvt_f32_f64_e32 v22, v[0:1]
	v_cvt_f64_f32_e32 v[0:1], v8
	v_cvt_f64_f32_e32 v[8:9], v9
	global_store_b64 v[17:18], v[21:22], off
	v_mul_f64 v[0:1], v[0:1], s[0:1]
	v_mul_f64 v[8:9], v[8:9], s[0:1]
	v_add_co_u32 v17, vcc_lo, v17, s3
	v_add_co_ci_u32_e32 v18, vcc_lo, s2, v18, vcc_lo
	s_delay_alu instid0(VALU_DEP_4) | instskip(NEXT) | instid1(VALU_DEP_4)
	v_cvt_f32_f64_e32 v0, v[0:1]
	v_cvt_f32_f64_e32 v1, v[8:9]
	v_cvt_f64_f32_e32 v[8:9], v10
	v_cvt_f64_f32_e32 v[10:11], v11
	global_store_b64 v[17:18], v[0:1], off
	v_mul_f64 v[8:9], v[8:9], s[0:1]
	v_mul_f64 v[10:11], v[10:11], s[0:1]
	v_add_co_u32 v0, vcc_lo, v17, s3
	v_add_co_ci_u32_e32 v1, vcc_lo, s2, v18, vcc_lo
	v_cvt_f64_f32_e32 v[17:18], v7
	v_cvt_f32_f64_e32 v8, v[8:9]
	v_cvt_f32_f64_e32 v9, v[10:11]
	v_cvt_f64_f32_e32 v[10:11], v12
	v_cvt_f64_f32_e32 v[12:13], v13
	global_store_b64 v[0:1], v[8:9], off
	v_mul_f64 v[10:11], v[10:11], s[0:1]
	v_mul_f64 v[12:13], v[12:13], s[0:1]
	v_add_co_u32 v0, vcc_lo, v0, s3
	v_add_co_ci_u32_e32 v1, vcc_lo, s2, v1, vcc_lo
	v_cvt_f64_f32_e32 v[8:9], v28
	v_cvt_f32_f64_e32 v10, v[10:11]
	v_cvt_f32_f64_e32 v11, v[12:13]
	v_cvt_f64_f32_e32 v[12:13], v25
	v_cvt_f64_f32_e32 v[25:26], v53
	v_mul_f64 v[7:8], v[8:9], s[0:1]
	s_delay_alu instid0(VALU_DEP_3) | instskip(NEXT) | instid1(VALU_DEP_3)
	v_mul_f64 v[12:13], v[12:13], s[0:1]
	v_mul_f64 v[25:26], v[25:26], s[0:1]
	s_delay_alu instid0(VALU_DEP_3) | instskip(NEXT) | instid1(VALU_DEP_3)
	v_cvt_f32_f64_e32 v7, v[7:8]
	v_cvt_f32_f64_e32 v12, v[12:13]
	;; [unrolled: 1-line block ×3, first 2 shown]
	s_clause 0x1
	global_store_b64 v[0:1], v[10:11], off
	global_store_b64 v[19:20], v[12:13], off
	v_cvt_f64_f32_e32 v[10:11], v29
	v_mad_u64_u32 v[19:20], null, 0x2400, s4, v[0:1]
	v_cvt_f64_f32_e32 v[12:13], v2
	s_mulk_i32 s4, 0xaa80
	v_cvt_f64_f32_e32 v[22:23], v33
	s_delay_alu instid0(VALU_DEP_3) | instskip(SKIP_1) | instid1(VALU_DEP_4)
	v_mov_b32_e32 v2, v20
	v_mul_f64 v[9:10], v[10:11], s[0:1]
	v_mul_f64 v[0:1], v[12:13], s[0:1]
	;; [unrolled: 1-line block ×3, first 2 shown]
	v_cvt_f64_f32_e32 v[13:14], v14
	v_cvt_f64_f32_e32 v[16:17], v16
	v_cvt_f32_f64_e32 v8, v[9:10]
	v_mad_u64_u32 v[9:10], null, 0x2400, s5, v[2:3]
	v_cvt_f64_f32_e32 v[2:3], v3
	v_cvt_f32_f64_e32 v0, v[0:1]
	v_mul_f64 v[13:14], v[13:14], s[0:1]
	v_mul_f64 v[16:17], v[16:17], s[0:1]
	v_cvt_f32_f64_e32 v1, v[11:12]
	v_add_co_u32 v11, vcc_lo, v19, s4
	v_mov_b32_e32 v20, v9
	v_cvt_f64_f32_e32 v[9:10], v4
	v_cvt_f64_f32_e32 v[4:5], v5
	s_mulk_i32 s5, 0xaa80
	s_delay_alu instid0(SALU_CYCLE_1) | instskip(NEXT) | instid1(SALU_CYCLE_1)
	s_add_i32 s5, s6, s5
	v_add_co_ci_u32_e32 v12, vcc_lo, s5, v20, vcc_lo
	global_store_b64 v[19:20], v[7:8], off
	v_cvt_f64_f32_e32 v[6:7], v6
	v_cvt_f64_f32_e32 v[18:19], v27
	v_mul_f64 v[2:3], v[2:3], s[0:1]
	v_cvt_f64_f32_e32 v[20:21], v31
	v_cvt_f32_f64_e32 v13, v[13:14]
	v_cvt_f32_f64_e32 v14, v[16:17]
	global_store_b64 v[11:12], v[0:1], off
	v_cvt_f64_f32_e32 v[27:28], v34
	v_cvt_f64_f32_e32 v[33:34], v38
	v_mul_f64 v[8:9], v[9:10], s[0:1]
	v_mul_f64 v[4:5], v[4:5], s[0:1]
	;; [unrolled: 1-line block ×4, first 2 shown]
	v_cvt_f32_f64_e32 v2, v[2:3]
	v_mul_f64 v[19:20], v[20:21], s[0:1]
	v_mul_f64 v[21:22], v[22:23], s[0:1]
	v_cvt_f64_f32_e32 v[23:24], v37
	v_cvt_f64_f32_e32 v[37:38], v50
	v_mul_f64 v[27:28], v[27:28], s[0:1]
	v_mul_f64 v[33:34], v[33:34], s[0:1]
	v_cvt_f32_f64_e32 v3, v[8:9]
	v_cvt_f64_f32_e32 v[8:9], v15
	v_cvt_f32_f64_e32 v4, v[4:5]
	v_cvt_f64_f32_e32 v[15:16], v32
	;; [unrolled: 2-line block ×3, first 2 shown]
	v_cvt_f64_f32_e32 v[29:30], v35
	v_mul_f64 v[23:24], v[23:24], s[0:1]
	v_mul_f64 v[37:38], v[37:38], s[0:1]
	;; [unrolled: 1-line block ×6, first 2 shown]
	s_delay_alu instid0(VALU_DEP_4)
	v_cvt_f32_f64_e32 v8, v[8:9]
	v_cvt_f32_f64_e32 v9, v[17:18]
	v_cvt_f64_f32_e32 v[17:18], v36
	v_cvt_f32_f64_e32 v15, v[15:16]
	v_cvt_f32_f64_e32 v16, v[21:22]
	v_cvt_f64_f32_e32 v[35:36], v39
	v_cvt_f32_f64_e32 v6, v[6:7]
	v_cvt_f32_f64_e32 v7, v[19:20]
	v_add_co_u32 v19, vcc_lo, v11, s3
	v_add_co_ci_u32_e32 v20, vcc_lo, s2, v12, vcc_lo
	v_cvt_f64_f32_e32 v[10:11], v44
	s_delay_alu instid0(VALU_DEP_3) | instskip(NEXT) | instid1(VALU_DEP_3)
	v_add_co_u32 v21, vcc_lo, v19, s3
	v_add_co_ci_u32_e32 v22, vcc_lo, s2, v20, vcc_lo
	global_store_b64 v[19:20], v[2:3], off
	global_store_b64 v[21:22], v[4:5], off
	v_mul_f64 v[17:18], v[17:18], s[0:1]
	v_add_co_u32 v0, vcc_lo, v21, s3
	v_add_co_ci_u32_e32 v1, vcc_lo, s2, v22, vcc_lo
	v_cvt_f64_f32_e32 v[2:3], v40
	v_cvt_f64_f32_e32 v[4:5], v41
	;; [unrolled: 1-line block ×3, first 2 shown]
	global_store_b64 v[0:1], v[13:14], off
	v_add_co_u32 v0, vcc_lo, v0, s3
	v_add_co_ci_u32_e32 v1, vcc_lo, s2, v1, vcc_lo
	v_cvt_f64_f32_e32 v[21:22], v52
	s_delay_alu instid0(VALU_DEP_3) | instskip(NEXT) | instid1(VALU_DEP_3)
	v_add_co_u32 v12, vcc_lo, v0, s3
	v_add_co_ci_u32_e32 v13, vcc_lo, s2, v1, vcc_lo
	global_store_b64 v[0:1], v[8:9], off
	v_cvt_f64_f32_e32 v[0:1], v45
	v_cvt_f64_f32_e32 v[8:9], v48
	v_add_co_u32 v31, vcc_lo, v12, s4
	v_add_co_ci_u32_e32 v32, vcc_lo, s5, v13, vcc_lo
	global_store_b64 v[12:13], v[6:7], off
	global_store_b64 v[31:32], v[15:16], off
	v_cvt_f64_f32_e32 v[12:13], v42
	v_cvt_f64_f32_e32 v[14:15], v43
	v_add_co_u32 v16, vcc_lo, v31, s3
	v_cvt_f32_f64_e32 v7, v[23:24]
	v_cvt_f64_f32_e32 v[23:24], v46
	v_cvt_f64_f32_e32 v[39:40], v51
	v_cvt_f64_f32_e32 v[41:42], v54
	v_cvt_f64_f32_e32 v[43:44], v55
	v_mul_f64 v[10:11], v[10:11], s[0:1]
	v_cvt_f32_f64_e32 v6, v[17:18]
	v_add_co_ci_u32_e32 v17, vcc_lo, s2, v32, vcc_lo
	v_cvt_f64_f32_e32 v[31:32], v47
	v_mul_f64 v[35:36], v[35:36], s[0:1]
	v_mul_f64 v[2:3], v[2:3], s[0:1]
	;; [unrolled: 1-line block ×13, first 2 shown]
	global_store_b64 v[16:17], v[6:7], off
	v_mul_f64 v[31:32], v[31:32], s[0:1]
	v_cvt_f32_f64_e32 v2, v[2:3]
	v_cvt_f32_f64_e32 v3, v[4:5]
	;; [unrolled: 1-line block ×8, first 2 shown]
	v_add_co_u32 v18, vcc_lo, v16, s3
	v_cvt_f32_f64_e32 v8, v[20:21]
	v_cvt_f32_f64_e32 v9, v[25:26]
	v_add_co_ci_u32_e32 v19, vcc_lo, s2, v17, vcc_lo
	s_delay_alu instid0(VALU_DEP_4) | instskip(SKIP_1) | instid1(VALU_DEP_3)
	v_add_co_u32 v24, vcc_lo, v18, s3
	v_cvt_f32_f64_e32 v20, v[33:34]
	v_add_co_ci_u32_e32 v25, vcc_lo, s2, v19, vcc_lo
	v_cvt_f32_f64_e32 v21, v[35:36]
	v_cvt_f32_f64_e32 v12, v[12:13]
	;; [unrolled: 1-line block ×3, first 2 shown]
	v_add_co_u32 v14, vcc_lo, v24, s3
	v_add_co_ci_u32_e32 v15, vcc_lo, s2, v25, vcc_lo
	v_cvt_f32_f64_e32 v22, v[22:23]
	v_cvt_f32_f64_e32 v23, v[31:32]
	;; [unrolled: 1-line block ×6, first 2 shown]
	v_add_co_u32 v30, vcc_lo, v14, s3
	v_add_co_ci_u32_e32 v31, vcc_lo, s2, v15, vcc_lo
	global_store_b64 v[18:19], v[2:3], off
	v_add_co_u32 v6, vcc_lo, v30, s4
	v_add_co_ci_u32_e32 v7, vcc_lo, s5, v31, vcc_lo
	s_delay_alu instid0(VALU_DEP_2) | instskip(NEXT) | instid1(VALU_DEP_2)
	v_add_co_u32 v2, vcc_lo, v6, s3
	v_add_co_ci_u32_e32 v3, vcc_lo, s2, v7, vcc_lo
	global_store_b64 v[24:25], v[4:5], off
	v_add_co_u32 v4, vcc_lo, v2, s3
	v_add_co_ci_u32_e32 v5, vcc_lo, s2, v3, vcc_lo
	global_store_b64 v[14:15], v[0:1], off
	;; [unrolled: 3-line block ×5, first 2 shown]
	global_store_b64 v[4:5], v[12:13], off
	global_store_b64 v[0:1], v[22:23], off
	;; [unrolled: 1-line block ×4, first 2 shown]
.LBB0_2:
	s_nop 0
	s_sendmsg sendmsg(MSG_DEALLOC_VGPRS)
	s_endpgm
	.section	.rodata,"a",@progbits
	.p2align	6, 0x0
	.amdhsa_kernel bluestein_single_back_len3456_dim1_sp_op_CI_CI
		.amdhsa_group_segment_fixed_size 27648
		.amdhsa_private_segment_fixed_size 164
		.amdhsa_kernarg_size 104
		.amdhsa_user_sgpr_count 15
		.amdhsa_user_sgpr_dispatch_ptr 0
		.amdhsa_user_sgpr_queue_ptr 0
		.amdhsa_user_sgpr_kernarg_segment_ptr 1
		.amdhsa_user_sgpr_dispatch_id 0
		.amdhsa_user_sgpr_private_segment_size 0
		.amdhsa_wavefront_size32 1
		.amdhsa_uses_dynamic_stack 0
		.amdhsa_enable_private_segment 1
		.amdhsa_system_sgpr_workgroup_id_x 1
		.amdhsa_system_sgpr_workgroup_id_y 0
		.amdhsa_system_sgpr_workgroup_id_z 0
		.amdhsa_system_sgpr_workgroup_info 0
		.amdhsa_system_vgpr_workitem_id 0
		.amdhsa_next_free_vgpr 256
		.amdhsa_next_free_sgpr 20
		.amdhsa_reserve_vcc 1
		.amdhsa_float_round_mode_32 0
		.amdhsa_float_round_mode_16_64 0
		.amdhsa_float_denorm_mode_32 3
		.amdhsa_float_denorm_mode_16_64 3
		.amdhsa_dx10_clamp 1
		.amdhsa_ieee_mode 1
		.amdhsa_fp16_overflow 0
		.amdhsa_workgroup_processor_mode 1
		.amdhsa_memory_ordered 1
		.amdhsa_forward_progress 0
		.amdhsa_shared_vgpr_count 0
		.amdhsa_exception_fp_ieee_invalid_op 0
		.amdhsa_exception_fp_denorm_src 0
		.amdhsa_exception_fp_ieee_div_zero 0
		.amdhsa_exception_fp_ieee_overflow 0
		.amdhsa_exception_fp_ieee_underflow 0
		.amdhsa_exception_fp_ieee_inexact 0
		.amdhsa_exception_int_div_zero 0
	.end_amdhsa_kernel
	.text
.Lfunc_end0:
	.size	bluestein_single_back_len3456_dim1_sp_op_CI_CI, .Lfunc_end0-bluestein_single_back_len3456_dim1_sp_op_CI_CI
                                        ; -- End function
	.section	.AMDGPU.csdata,"",@progbits
; Kernel info:
; codeLenInByte = 23836
; NumSgprs: 22
; NumVgprs: 256
; ScratchSize: 164
; MemoryBound: 0
; FloatMode: 240
; IeeeMode: 1
; LDSByteSize: 27648 bytes/workgroup (compile time only)
; SGPRBlocks: 2
; VGPRBlocks: 31
; NumSGPRsForWavesPerEU: 22
; NumVGPRsForWavesPerEU: 256
; Occupancy: 5
; WaveLimiterHint : 1
; COMPUTE_PGM_RSRC2:SCRATCH_EN: 1
; COMPUTE_PGM_RSRC2:USER_SGPR: 15
; COMPUTE_PGM_RSRC2:TRAP_HANDLER: 0
; COMPUTE_PGM_RSRC2:TGID_X_EN: 1
; COMPUTE_PGM_RSRC2:TGID_Y_EN: 0
; COMPUTE_PGM_RSRC2:TGID_Z_EN: 0
; COMPUTE_PGM_RSRC2:TIDIG_COMP_CNT: 0
	.text
	.p2alignl 7, 3214868480
	.fill 96, 4, 3214868480
	.type	__hip_cuid_260a86b50d07f05d,@object ; @__hip_cuid_260a86b50d07f05d
	.section	.bss,"aw",@nobits
	.globl	__hip_cuid_260a86b50d07f05d
__hip_cuid_260a86b50d07f05d:
	.byte	0                               ; 0x0
	.size	__hip_cuid_260a86b50d07f05d, 1

	.ident	"AMD clang version 19.0.0git (https://github.com/RadeonOpenCompute/llvm-project roc-6.4.0 25133 c7fe45cf4b819c5991fe208aaa96edf142730f1d)"
	.section	".note.GNU-stack","",@progbits
	.addrsig
	.addrsig_sym __hip_cuid_260a86b50d07f05d
	.amdgpu_metadata
---
amdhsa.kernels:
  - .args:
      - .actual_access:  read_only
        .address_space:  global
        .offset:         0
        .size:           8
        .value_kind:     global_buffer
      - .actual_access:  read_only
        .address_space:  global
        .offset:         8
        .size:           8
        .value_kind:     global_buffer
      - .actual_access:  read_only
        .address_space:  global
        .offset:         16
        .size:           8
        .value_kind:     global_buffer
      - .actual_access:  read_only
        .address_space:  global
        .offset:         24
        .size:           8
        .value_kind:     global_buffer
      - .actual_access:  read_only
        .address_space:  global
        .offset:         32
        .size:           8
        .value_kind:     global_buffer
      - .offset:         40
        .size:           8
        .value_kind:     by_value
      - .address_space:  global
        .offset:         48
        .size:           8
        .value_kind:     global_buffer
      - .address_space:  global
        .offset:         56
        .size:           8
        .value_kind:     global_buffer
      - .address_space:  global
        .offset:         64
        .size:           8
        .value_kind:     global_buffer
      - .address_space:  global
        .offset:         72
        .size:           8
        .value_kind:     global_buffer
      - .offset:         80
        .size:           4
        .value_kind:     by_value
      - .address_space:  global
        .offset:         88
        .size:           8
        .value_kind:     global_buffer
      - .address_space:  global
        .offset:         96
        .size:           8
        .value_kind:     global_buffer
    .group_segment_fixed_size: 27648
    .kernarg_segment_align: 8
    .kernarg_segment_size: 104
    .language:       OpenCL C
    .language_version:
      - 2
      - 0
    .max_flat_workgroup_size: 144
    .name:           bluestein_single_back_len3456_dim1_sp_op_CI_CI
    .private_segment_fixed_size: 164
    .sgpr_count:     22
    .sgpr_spill_count: 0
    .symbol:         bluestein_single_back_len3456_dim1_sp_op_CI_CI.kd
    .uniform_work_group_size: 1
    .uses_dynamic_stack: false
    .vgpr_count:     256
    .vgpr_spill_count: 40
    .wavefront_size: 32
    .workgroup_processor_mode: 1
amdhsa.target:   amdgcn-amd-amdhsa--gfx1100
amdhsa.version:
  - 1
  - 2
...

	.end_amdgpu_metadata
